;; amdgpu-corpus repo=pytorch/pytorch kind=compiled arch=gfx1030 opt=O3
	.amdgcn_target "amdgcn-amd-amdhsa--gfx1030"
	.amdhsa_code_object_version 6
	.text
	.p2align	2                               ; -- Begin function _ZN2at6native25elementwise_kernel_helperILb0EZZZNS0_12_GLOBAL__N_130modified_bessel_i1_kernel_cudaERNS_18TensorIteratorBaseEENKUlvE_clEvENKUlvE_clEvEUldE_NS0_6memory8policies11unroll_baseILi256ESt5arrayIPcLm2EE23TrivialOffsetCalculatorILi1EjESF_NS8_15LoadWithoutCastENS8_16StoreWithoutCastELi4ELi1EEEEEvT0_T1_
	.type	_ZN2at6native25elementwise_kernel_helperILb0EZZZNS0_12_GLOBAL__N_130modified_bessel_i1_kernel_cudaERNS_18TensorIteratorBaseEENKUlvE_clEvENKUlvE_clEvEUldE_NS0_6memory8policies11unroll_baseILi256ESt5arrayIPcLm2EE23TrivialOffsetCalculatorILi1EjESF_NS8_15LoadWithoutCastENS8_16StoreWithoutCastELi4ELi1EEEEEvT0_T1_,@function
_ZN2at6native25elementwise_kernel_helperILb0EZZZNS0_12_GLOBAL__N_130modified_bessel_i1_kernel_cudaERNS_18TensorIteratorBaseEENKUlvE_clEvENKUlvE_clEvEUldE_NS0_6memory8policies11unroll_baseILi256ESt5arrayIPcLm2EE23TrivialOffsetCalculatorILi1EjESF_NS8_15LoadWithoutCastENS8_16StoreWithoutCastELi4ELi1EEEEEvT0_T1_: ; @_ZN2at6native25elementwise_kernel_helperILb0EZZZNS0_12_GLOBAL__N_130modified_bessel_i1_kernel_cudaERNS_18TensorIteratorBaseEENKUlvE_clEvENKUlvE_clEvEUldE_NS0_6memory8policies11unroll_baseILi256ESt5arrayIPcLm2EE23TrivialOffsetCalculatorILi1EjESF_NS8_15LoadWithoutCastENS8_16StoreWithoutCastELi4ELi1EEEEEvT0_T1_
; %bb.0:
	s_waitcnt vmcnt(0) expcnt(0) lgkmcnt(0)
	v_and_b32_e32 v22, 0x3ff, v31
	s_lshl_b32 s6, s12, 10
	v_mov_b32_e32 v16, 0
	v_mov_b32_e32 v18, 0
	;; [unrolled: 1-line block ×3, first 2 shown]
	v_cmp_lt_i32_e64 s4, v22, v4
	v_or_b32_e32 v5, s6, v22
	v_add_nc_u32_e32 v23, 0x100, v22
	v_mov_b32_e32 v19, 0
	v_mov_b32_e32 v10, v22
	s_and_saveexec_b32 s5, s4
	s_cbranch_execz .LBB0_2
; %bb.1:
	v_mov_b32_e32 v6, 0
	v_add_nc_u32_e32 v10, 0x100, v22
	v_lshlrev_b64 v[6:7], 3, v[5:6]
	v_add_co_u32 v6, vcc_lo, v2, v6
	v_add_co_ci_u32_e64 v7, null, v3, v7, vcc_lo
	flat_load_dwordx2 v[18:19], v[6:7]
.LBB0_2:
	s_or_b32 exec_lo, exec_lo, s5
	s_mov_b32 s5, exec_lo
	v_cmpx_lt_i32_e64 v10, v4
	s_cbranch_execz .LBB0_4
; %bb.3:
	v_add_nc_u32_e32 v6, s6, v10
	v_mov_b32_e32 v7, 0
	v_add_nc_u32_e32 v10, 0x100, v10
	v_lshlrev_b64 v[6:7], 3, v[6:7]
	v_add_co_u32 v6, vcc_lo, v2, v6
	v_add_co_ci_u32_e64 v7, null, v3, v7, vcc_lo
	flat_load_dwordx2 v[16:17], v[6:7]
.LBB0_4:
	s_or_b32 exec_lo, exec_lo, s5
	v_mov_b32_e32 v6, 0
	v_mov_b32_e32 v8, 0
	;; [unrolled: 1-line block ×4, first 2 shown]
	s_mov_b32 s5, exec_lo
	v_cmpx_lt_i32_e64 v10, v4
	s_cbranch_execz .LBB0_6
; %bb.5:
	v_add_nc_u32_e32 v8, s6, v10
	v_mov_b32_e32 v9, 0
	v_add_nc_u32_e32 v10, 0x100, v10
	v_lshlrev_b64 v[8:9], 3, v[8:9]
	v_add_co_u32 v8, vcc_lo, v2, v8
	v_add_co_ci_u32_e64 v9, null, v3, v9, vcc_lo
	flat_load_dwordx2 v[8:9], v[8:9]
.LBB0_6:
	s_or_b32 exec_lo, exec_lo, s5
	s_mov_b32 s5, exec_lo
	v_cmpx_lt_i32_e64 v10, v4
	s_cbranch_execz .LBB0_8
; %bb.7:
	v_add_nc_u32_e32 v6, s6, v10
	v_mov_b32_e32 v7, 0
	v_lshlrev_b64 v[6:7], 3, v[6:7]
	v_add_co_u32 v2, vcc_lo, v2, v6
	v_add_co_ci_u32_e64 v3, null, v3, v7, vcc_lo
	flat_load_dwordx2 v[6:7], v[2:3]
.LBB0_8:
	s_or_b32 exec_lo, exec_lo, s5
	v_mov_b32_e32 v2, 0
	v_mov_b32_e32 v3, v2
	;; [unrolled: 1-line block ×8, first 2 shown]
	s_and_saveexec_b32 s7, s4
	s_cbranch_execz .LBB0_22
; %bb.9:
	s_waitcnt vmcnt(0) lgkmcnt(0)
	v_cmp_ge_f64_e64 s5, 0x40200000, |v[18:19]|
                                        ; implicit-def: $vgpr2_vgpr3
	s_and_saveexec_b32 s8, s5
	s_xor_b32 s5, exec_lo, s8
	s_cbranch_execz .LBB0_15
; %bb.10:
	v_fma_f64 v[2:3], |v[18:19]|, 0.5, -2.0
	s_mov_b32 s8, 0xc38a0576
	s_mov_b32 s9, 0xbc7857d0
	;; [unrolled: 1-line block ×4, first 2 shown]
	v_fma_f64 v[10:11], v[2:3], s[10:11], s[8:9]
	s_mov_b32 s11, 0xbc499f2a
	s_mov_b32 s8, 0xe593bfac
	;; [unrolled: 1-line block ×3, first 2 shown]
	v_fma_f64 v[12:13], v[2:3], v[10:11], s[10:11]
	s_mov_b32 s10, 0x3b39803f
	s_mov_b32 s11, 0xbc7abc9e
	v_add_f64 v[12:13], v[12:13], s[8:9]
	s_mov_b32 s8, 0x7e0d1573
	s_mov_b32 s9, 0xbcd3eaaa
	v_fma_f64 v[10:11], v[2:3], v[12:13], -v[10:11]
	v_add_f64 v[10:11], v[10:11], s[8:9]
	s_mov_b32 s8, 0x615290c
	s_mov_b32 s9, 0x3d011d7f
	v_fma_f64 v[12:13], v[2:3], v[10:11], -v[12:13]
	;; [unrolled: 4-line block ×20, first 2 shown]
	v_add_f64 v[12:13], v[12:13], s[8:9]
	s_mov_b32 s8, 0x652b82fe
	s_mov_b32 s9, 0x3ff71547
	v_mul_f64 v[14:15], |v[18:19]|, s[8:9]
	s_mov_b32 s8, 0x7913a26a
	s_mov_b32 s9, 0xbf85a29f
	v_fma_f64 v[10:11], v[2:3], v[12:13], -v[10:11]
	v_rndne_f64_e32 v[14:15], v[14:15]
	v_add_f64 v[10:11], v[10:11], s[8:9]
	s_mov_b32 s8, 0xfefa39ef
	s_mov_b32 s9, 0xbfe62e42
	v_fma_f64 v[20:21], v[14:15], s[8:9], |v[18:19]|
	s_mov_b32 s8, 0xe7bb2349
	s_mov_b32 s9, 0x3f9951e3
	v_fma_f64 v[12:13], v[2:3], v[10:11], -v[12:13]
	v_fma_f64 v[20:21], v[14:15], s[10:11], v[20:21]
	s_mov_b32 s10, 0x6a5dcb37
	s_mov_b32 s11, 0x3e5ade15
	v_cvt_i32_f64_e32 v14, v[14:15]
	v_add_f64 v[12:13], v[12:13], s[8:9]
	s_mov_b32 s8, 0xfca7ab0c
	s_mov_b32 s9, 0x3e928af3
	v_fma_f64 v[24:25], v[20:21], s[10:11], s[8:9]
	s_mov_b32 s8, 0x537c9ebc
	s_mov_b32 s10, 0x623fde64
	;; [unrolled: 1-line block ×4, first 2 shown]
	v_fma_f64 v[10:11], v[2:3], v[12:13], -v[10:11]
	v_fma_f64 v[24:25], v[20:21], v[24:25], s[10:11]
	s_mov_b32 s10, 0x14761f6e
	s_mov_b32 s11, 0x3f2a01a0
	v_add_f64 v[10:11], v[10:11], s[8:9]
	s_mov_b32 s8, 0x7c89e6b0
	s_mov_b32 s9, 0x3efa0199
	v_fma_f64 v[24:25], v[20:21], v[24:25], s[8:9]
	s_mov_b32 s8, 0xd536f53c
	s_mov_b32 s9, 0x3fba46da
	v_fma_f64 v[12:13], v[2:3], v[10:11], -v[12:13]
	v_fma_f64 v[24:25], v[20:21], v[24:25], s[10:11]
	s_mov_b32 s10, 0x11122322
	s_mov_b32 s11, 0x3f811111
	v_add_f64 v[12:13], v[12:13], s[8:9]
	s_mov_b32 s8, 0x1852b7b0
	s_mov_b32 s9, 0x3f56c16c
	v_fma_f64 v[24:25], v[20:21], v[24:25], s[8:9]
	s_mov_b32 s8, 0x469192e
	s_mov_b32 s9, 0xbfc694d1
	v_fma_f64 v[10:11], v[2:3], v[12:13], -v[10:11]
	v_fma_f64 v[24:25], v[20:21], v[24:25], s[10:11]
	s_mov_b32 s10, 0x55555511
	s_mov_b32 s11, 0x3fc55555
	v_add_f64 v[10:11], v[10:11], s[8:9]
	s_mov_b32 s8, 0x555502a1
	s_mov_b32 s9, 0x3fa55555
	v_fma_f64 v[24:25], v[20:21], v[24:25], s[8:9]
	s_mov_b32 s8, 0x724a7ffa
	s_mov_b32 s9, 0x3fd02a63
	v_fma_f64 v[2:3], v[2:3], v[10:11], -v[12:13]
	v_fma_f64 v[10:11], v[20:21], v[24:25], s[10:11]
	v_add_f64 v[2:3], v[2:3], s[8:9]
	s_mov_b32 s8, 11
	s_mov_b32 s9, 0x3fe00000
	v_fma_f64 v[10:11], v[20:21], v[10:11], s[8:9]
	s_mov_b32 s8, exec_lo
	v_add_f64 v[2:3], v[2:3], -v[12:13]
	v_fma_f64 v[10:11], v[20:21], v[10:11], 1.0
	v_mul_f64 v[2:3], v[2:3], 0.5
	v_fma_f64 v[12:13], v[20:21], v[10:11], 1.0
	v_mul_f64 v[10:11], |v[18:19]|, v[2:3]
                                        ; implicit-def: $vgpr2_vgpr3
	v_cmpx_ngt_f64_e32 0, v[18:19]
	s_xor_b32 s8, exec_lo, s8
	s_cbranch_execz .LBB0_12
; %bb.11:
	v_ldexp_f64 v[2:3], v[12:13], v14
	v_cmp_nlt_f64_e64 vcc_lo, 0x40900000, |v[18:19]|
                                        ; implicit-def: $vgpr12_vgpr13
                                        ; implicit-def: $vgpr14
                                        ; implicit-def: $vgpr18_vgpr19
	v_cndmask_b32_e32 v3, 0x7ff00000, v3, vcc_lo
	v_cndmask_b32_e32 v2, 0, v2, vcc_lo
	v_mul_f64 v[2:3], v[2:3], v[10:11]
                                        ; implicit-def: $vgpr10_vgpr11
.LBB0_12:
	s_andn2_saveexec_b32 s8, s8
	s_cbranch_execz .LBB0_14
; %bb.13:
	v_ldexp_f64 v[2:3], -v[12:13], v14
	v_cmp_nlt_f64_e64 vcc_lo, 0x40900000, |v[18:19]|
	v_cndmask_b32_e32 v3, 0xfff00000, v3, vcc_lo
	v_cndmask_b32_e32 v2, 0, v2, vcc_lo
	v_mul_f64 v[2:3], v[2:3], v[10:11]
.LBB0_14:
	s_or_b32 exec_lo, exec_lo, s8
                                        ; implicit-def: $vgpr18_vgpr19
.LBB0_15:
	s_andn2_saveexec_b32 s8, s5
	s_cbranch_execz .LBB0_21
; %bb.16:
	v_and_b32_e32 v3, 0x7fffffff, v19
	v_mov_b32_e32 v2, v18
	s_mov_b32 s10, 0xea87b950
	s_mov_b32 s11, 0x3c545b8a
	;; [unrolled: 1-line block ×4, first 2 shown]
	v_div_scale_f64 v[10:11], null, v[2:3], v[2:3], 0x40400000
	v_div_scale_f64 v[2:3], vcc_lo, 0x40400000, v[2:3], 0x40400000
	v_cmp_ngt_f64_e64 s5, 0, v[18:19]
	v_rcp_f64_e32 v[12:13], v[10:11]
	v_fma_f64 v[14:15], -v[10:11], v[12:13], 1.0
	v_fma_f64 v[12:13], v[12:13], v[14:15], v[12:13]
	v_fma_f64 v[14:15], -v[10:11], v[12:13], 1.0
	v_fma_f64 v[12:13], v[12:13], v[14:15], v[12:13]
	v_mul_f64 v[14:15], v[2:3], v[12:13]
	v_fma_f64 v[2:3], -v[10:11], v[14:15], v[2:3]
	v_div_fmas_f64 v[2:3], v[2:3], v[12:13], v[14:15]
	v_cmp_nlt_f64_e64 vcc_lo, 0x40900000, |v[18:19]|
	v_div_fixup_f64 v[2:3], v[2:3], |v[18:19]|, 0x40400000
	v_add_f64 v[2:3], v[2:3], -2.0
	v_fma_f64 v[10:11], v[2:3], s[12:13], s[10:11]
	s_mov_b32 s13, 0xbc61556d
	s_mov_b32 s10, 0xb2532277
	s_mov_b32 s11, 0xbc8acea3
	v_fma_f64 v[12:13], v[2:3], v[10:11], s[12:13]
	s_mov_b32 s12, 0x6a5dcb37
	s_mov_b32 s13, 0x3e5ade15
	v_add_f64 v[12:13], v[12:13], s[10:11]
	s_mov_b32 s10, 0x9c773320
	s_mov_b32 s11, 0xbc82806c
	v_fma_f64 v[10:11], v[2:3], v[12:13], -v[10:11]
	v_add_f64 v[10:11], v[10:11], s[10:11]
	s_mov_b32 s10, 0xfceb588a
	s_mov_b32 s11, 0x3cb55915
	v_fma_f64 v[12:13], v[2:3], v[10:11], -v[12:13]
	;; [unrolled: 4-line block ×14, first 2 shown]
	v_add_f64 v[12:13], v[12:13], s[10:11]
	s_mov_b32 s10, 0x652b82fe
	s_mov_b32 s11, 0x3ff71547
	v_mul_f64 v[14:15], |v[18:19]|, s[10:11]
	s_mov_b32 s10, 0x5423dd80
	s_mov_b32 s11, 0xbe0334ca
	v_fma_f64 v[10:11], v[2:3], v[12:13], -v[10:11]
	v_rndne_f64_e32 v[14:15], v[14:15]
	v_add_f64 v[10:11], v[10:11], s[10:11]
	s_mov_b32 s10, 0xfefa39ef
	s_mov_b32 s11, 0xbfe62e42
	v_fma_f64 v[20:21], v[14:15], s[10:11], |v[18:19]|
	s_mov_b32 s10, 0x9ad53528
	s_mov_b32 s11, 0xbe30790b
	v_fma_f64 v[12:13], v[2:3], v[10:11], -v[12:13]
	v_add_f64 v[12:13], v[12:13], s[10:11]
	s_mov_b32 s10, 0x3b39803f
	s_mov_b32 s11, 0xbc7abc9e
	v_fma_f64 v[20:21], v[14:15], s[10:11], v[20:21]
	s_mov_b32 s10, 0xfca7ab0c
	s_mov_b32 s11, 0x3e928af3
	v_cvt_i32_f64_e32 v14, v[14:15]
	v_fma_f64 v[10:11], v[2:3], v[12:13], -v[10:11]
	v_fma_f64 v[24:25], v[20:21], s[12:13], s[10:11]
	s_mov_b32 s10, 0x94bb46c1
	s_mov_b32 s11, 0xbe5c4153
	v_add_f64 v[10:11], v[10:11], s[10:11]
	s_mov_b32 s10, 0x623fde64
	s_mov_b32 s11, 0x3ec71dee
	v_fma_f64 v[24:25], v[20:21], v[24:25], s[10:11]
	s_mov_b32 s10, 0x7c89e6b0
	s_mov_b32 s11, 0x3efa0199
	v_fma_f64 v[12:13], v[2:3], v[10:11], -v[12:13]
	v_fma_f64 v[24:25], v[20:21], v[24:25], s[10:11]
	s_mov_b32 s10, 0x2e9e5443
	s_mov_b32 s11, 0xbe90dbfd
	v_add_f64 v[12:13], v[12:13], s[10:11]
	s_mov_b32 s10, 0x14761f6e
	s_mov_b32 s11, 0x3f2a01a0
	v_fma_f64 v[24:25], v[20:21], v[24:25], s[10:11]
	s_mov_b32 s10, 0x1852b7b0
	s_mov_b32 s11, 0x3f56c16c
	;; [unrolled: 10-line block ×4, first 2 shown]
	v_fma_f64 v[10:11], v[2:3], v[12:13], -v[10:11]
	v_fma_f64 v[24:25], v[20:21], v[24:25], s[10:11]
	s_mov_b32 s10, 0x53fcdb4c
	s_mov_b32 s11, 0xbf83fda0
	v_add_f64 v[10:11], v[10:11], s[10:11]
	s_mov_b32 s10, 0xb55b1514
	s_mov_b32 s11, 0x3fe8ea18
	v_fma_f64 v[24:25], v[20:21], v[24:25], 1.0
	v_fma_f64 v[2:3], v[2:3], v[10:11], -v[12:13]
	v_fma_f64 v[10:11], v[20:21], v[24:25], 1.0
	v_add_f64 v[2:3], v[2:3], s[10:11]
	v_ldexp_f64 v[10:11], v[10:11], v14
	v_add_f64 v[12:13], v[2:3], -v[12:13]
                                        ; implicit-def: $vgpr2_vgpr3
	v_cndmask_b32_e32 v11, 0x7ff00000, v11, vcc_lo
	v_cndmask_b32_e32 v10, 0, v10, vcc_lo
	s_and_saveexec_b32 s9, s5
	s_xor_b32 s5, exec_lo, s9
	s_cbranch_execz .LBB0_18
; %bb.17:
	v_cmp_gt_f64_e64 s9, 0x10000000, |v[18:19]|
	v_mul_f64 v[12:13], v[12:13], 0.5
	v_cndmask_b32_e64 v2, 0, 0x100, s9
	v_mul_f64 v[10:11], v[10:11], v[12:13]
	v_ldexp_f64 v[2:3], |v[18:19]|, v2
	v_rsq_f64_e32 v[14:15], v[2:3]
	v_cmp_class_f64_e64 vcc_lo, v[2:3], 0x260
	v_mul_f64 v[18:19], v[2:3], v[14:15]
	v_mul_f64 v[14:15], v[14:15], 0.5
	v_fma_f64 v[20:21], -v[14:15], v[18:19], 0.5
	v_fma_f64 v[18:19], v[18:19], v[20:21], v[18:19]
	v_fma_f64 v[14:15], v[14:15], v[20:21], v[14:15]
	v_fma_f64 v[20:21], -v[18:19], v[18:19], v[2:3]
	v_fma_f64 v[18:19], v[20:21], v[14:15], v[18:19]
	v_fma_f64 v[20:21], -v[18:19], v[18:19], v[2:3]
	v_fma_f64 v[14:15], v[20:21], v[14:15], v[18:19]
	v_cndmask_b32_e64 v18, 0, 0xffffff80, s9
	v_ldexp_f64 v[14:15], v[14:15], v18
	v_cndmask_b32_e32 v3, v15, v3, vcc_lo
	v_cndmask_b32_e32 v2, v14, v2, vcc_lo
	v_div_scale_f64 v[12:13], null, v[2:3], v[2:3], v[10:11]
	v_rcp_f64_e32 v[14:15], v[12:13]
	v_fma_f64 v[18:19], -v[12:13], v[14:15], 1.0
	v_fma_f64 v[14:15], v[14:15], v[18:19], v[14:15]
	v_fma_f64 v[18:19], -v[12:13], v[14:15], 1.0
	v_fma_f64 v[14:15], v[14:15], v[18:19], v[14:15]
	v_div_scale_f64 v[18:19], vcc_lo, v[10:11], v[2:3], v[10:11]
	v_mul_f64 v[20:21], v[18:19], v[14:15]
	v_fma_f64 v[12:13], -v[12:13], v[20:21], v[18:19]
                                        ; implicit-def: $vgpr18_vgpr19
	v_div_fmas_f64 v[12:13], v[12:13], v[14:15], v[20:21]
	v_div_fixup_f64 v[2:3], v[12:13], v[2:3], v[10:11]
                                        ; implicit-def: $vgpr12_vgpr13
                                        ; implicit-def: $vgpr10_vgpr11
.LBB0_18:
	s_andn2_saveexec_b32 s5, s5
	s_cbranch_execz .LBB0_20
; %bb.19:
	v_cmp_gt_f64_e64 s9, 0x10000000, |v[18:19]|
	v_mul_f64 v[12:13], v[12:13], -0.5
	v_cndmask_b32_e64 v2, 0, 0x100, s9
	v_mul_f64 v[10:11], v[10:11], v[12:13]
	v_ldexp_f64 v[2:3], |v[18:19]|, v2
	v_rsq_f64_e32 v[14:15], v[2:3]
	v_cmp_class_f64_e64 vcc_lo, v[2:3], 0x260
	v_mul_f64 v[18:19], v[2:3], v[14:15]
	v_mul_f64 v[14:15], v[14:15], 0.5
	v_fma_f64 v[20:21], -v[14:15], v[18:19], 0.5
	v_fma_f64 v[18:19], v[18:19], v[20:21], v[18:19]
	v_fma_f64 v[14:15], v[14:15], v[20:21], v[14:15]
	v_fma_f64 v[20:21], -v[18:19], v[18:19], v[2:3]
	v_fma_f64 v[18:19], v[20:21], v[14:15], v[18:19]
	v_fma_f64 v[20:21], -v[18:19], v[18:19], v[2:3]
	v_fma_f64 v[14:15], v[20:21], v[14:15], v[18:19]
	v_cndmask_b32_e64 v18, 0, 0xffffff80, s9
	v_ldexp_f64 v[14:15], v[14:15], v18
	v_cndmask_b32_e32 v3, v15, v3, vcc_lo
	v_cndmask_b32_e32 v2, v14, v2, vcc_lo
	v_div_scale_f64 v[12:13], null, v[2:3], v[2:3], v[10:11]
	v_rcp_f64_e32 v[14:15], v[12:13]
	v_fma_f64 v[18:19], -v[12:13], v[14:15], 1.0
	v_fma_f64 v[14:15], v[14:15], v[18:19], v[14:15]
	v_fma_f64 v[18:19], -v[12:13], v[14:15], 1.0
	v_fma_f64 v[14:15], v[14:15], v[18:19], v[14:15]
	v_div_scale_f64 v[18:19], vcc_lo, v[10:11], v[2:3], v[10:11]
	v_mul_f64 v[20:21], v[18:19], v[14:15]
	v_fma_f64 v[12:13], -v[12:13], v[20:21], v[18:19]
	v_div_fmas_f64 v[12:13], v[12:13], v[14:15], v[20:21]
	v_div_fixup_f64 v[2:3], v[12:13], v[2:3], v[10:11]
.LBB0_20:
	s_or_b32 exec_lo, exec_lo, s5
.LBB0_21:
	s_or_b32 exec_lo, exec_lo, s8
	v_mov_b32_e32 v14, 0
	v_mov_b32_e32 v15, v14
	;; [unrolled: 1-line block ×6, first 2 shown]
.LBB0_22:
	s_or_b32 exec_lo, exec_lo, s7
	s_mov_b32 s7, exec_lo
	v_cmpx_lt_i32_e64 v23, v4
	s_cbranch_execz .LBB0_36
; %bb.23:
	s_waitcnt vmcnt(0) lgkmcnt(0)
	v_cmp_ge_f64_e64 s5, 0x40200000, |v[16:17]|
	s_and_saveexec_b32 s8, s5
	s_xor_b32 s5, exec_lo, s8
                                        ; implicit-def: $vgpr14_vgpr15
	s_cbranch_execz .LBB0_29
; %bb.24:
	v_fma_f64 v[14:15], |v[16:17]|, 0.5, -2.0
	s_mov_b32 s8, 0xc38a0576
	s_mov_b32 s9, 0xbc7857d0
	;; [unrolled: 1-line block ×4, first 2 shown]
	v_fma_f64 v[18:19], v[14:15], s[10:11], s[8:9]
	s_mov_b32 s11, 0xbc499f2a
	s_mov_b32 s8, 0xe593bfac
	;; [unrolled: 1-line block ×3, first 2 shown]
	v_fma_f64 v[20:21], v[14:15], v[18:19], s[10:11]
	s_mov_b32 s10, 0x3b39803f
	s_mov_b32 s11, 0xbc7abc9e
	v_add_f64 v[20:21], v[20:21], s[8:9]
	s_mov_b32 s8, 0x7e0d1573
	s_mov_b32 s9, 0xbcd3eaaa
	v_fma_f64 v[18:19], v[14:15], v[20:21], -v[18:19]
	v_add_f64 v[18:19], v[18:19], s[8:9]
	s_mov_b32 s8, 0x615290c
	s_mov_b32 s9, 0x3d011d7f
	v_fma_f64 v[20:21], v[14:15], v[18:19], -v[20:21]
	;; [unrolled: 4-line block ×20, first 2 shown]
	v_add_f64 v[20:21], v[20:21], s[8:9]
	s_mov_b32 s8, 0x652b82fe
	s_mov_b32 s9, 0x3ff71547
	v_mul_f64 v[24:25], |v[16:17]|, s[8:9]
	s_mov_b32 s8, 0x7913a26a
	s_mov_b32 s9, 0xbf85a29f
	v_fma_f64 v[18:19], v[14:15], v[20:21], -v[18:19]
	v_rndne_f64_e32 v[24:25], v[24:25]
	v_add_f64 v[18:19], v[18:19], s[8:9]
	s_mov_b32 s8, 0xfefa39ef
	s_mov_b32 s9, 0xbfe62e42
	v_fma_f64 v[26:27], v[24:25], s[8:9], |v[16:17]|
	s_mov_b32 s8, 0xe7bb2349
	s_mov_b32 s9, 0x3f9951e3
	v_fma_f64 v[20:21], v[14:15], v[18:19], -v[20:21]
	v_fma_f64 v[26:27], v[24:25], s[10:11], v[26:27]
	s_mov_b32 s10, 0x6a5dcb37
	s_mov_b32 s11, 0x3e5ade15
	v_cvt_i32_f64_e32 v24, v[24:25]
	v_add_f64 v[20:21], v[20:21], s[8:9]
	s_mov_b32 s8, 0xfca7ab0c
	s_mov_b32 s9, 0x3e928af3
	v_fma_f64 v[28:29], v[26:27], s[10:11], s[8:9]
	s_mov_b32 s8, 0x537c9ebc
	s_mov_b32 s10, 0x623fde64
	;; [unrolled: 1-line block ×4, first 2 shown]
	v_fma_f64 v[18:19], v[14:15], v[20:21], -v[18:19]
	v_fma_f64 v[28:29], v[26:27], v[28:29], s[10:11]
	s_mov_b32 s10, 0x14761f6e
	s_mov_b32 s11, 0x3f2a01a0
	v_add_f64 v[18:19], v[18:19], s[8:9]
	s_mov_b32 s8, 0x7c89e6b0
	s_mov_b32 s9, 0x3efa0199
	v_fma_f64 v[28:29], v[26:27], v[28:29], s[8:9]
	s_mov_b32 s8, 0xd536f53c
	s_mov_b32 s9, 0x3fba46da
	v_fma_f64 v[20:21], v[14:15], v[18:19], -v[20:21]
	v_fma_f64 v[28:29], v[26:27], v[28:29], s[10:11]
	s_mov_b32 s10, 0x11122322
	s_mov_b32 s11, 0x3f811111
	v_add_f64 v[20:21], v[20:21], s[8:9]
	s_mov_b32 s8, 0x1852b7b0
	s_mov_b32 s9, 0x3f56c16c
	v_fma_f64 v[28:29], v[26:27], v[28:29], s[8:9]
	s_mov_b32 s8, 0x469192e
	s_mov_b32 s9, 0xbfc694d1
	;; [unrolled: 10-line block ×3, first 2 shown]
	v_fma_f64 v[14:15], v[14:15], v[18:19], -v[20:21]
	v_fma_f64 v[18:19], v[26:27], v[28:29], s[10:11]
	v_add_f64 v[14:15], v[14:15], s[8:9]
	s_mov_b32 s8, 11
	s_mov_b32 s9, 0x3fe00000
	v_fma_f64 v[18:19], v[26:27], v[18:19], s[8:9]
	s_mov_b32 s8, exec_lo
	v_add_f64 v[14:15], v[14:15], -v[20:21]
	v_fma_f64 v[18:19], v[26:27], v[18:19], 1.0
	v_mul_f64 v[14:15], v[14:15], 0.5
	v_fma_f64 v[20:21], v[26:27], v[18:19], 1.0
	v_mul_f64 v[18:19], |v[16:17]|, v[14:15]
	v_cmpx_ngt_f64_e32 0, v[16:17]
	s_xor_b32 s8, exec_lo, s8
                                        ; implicit-def: $vgpr14_vgpr15
	s_cbranch_execz .LBB0_26
; %bb.25:
	v_ldexp_f64 v[14:15], v[20:21], v24
	v_cmp_nlt_f64_e64 vcc_lo, 0x40900000, |v[16:17]|
                                        ; implicit-def: $vgpr20_vgpr21
                                        ; implicit-def: $vgpr24
                                        ; implicit-def: $vgpr16_vgpr17
	v_cndmask_b32_e32 v15, 0x7ff00000, v15, vcc_lo
	v_cndmask_b32_e32 v14, 0, v14, vcc_lo
	v_mul_f64 v[14:15], v[14:15], v[18:19]
                                        ; implicit-def: $vgpr18_vgpr19
.LBB0_26:
	s_andn2_saveexec_b32 s8, s8
	s_cbranch_execz .LBB0_28
; %bb.27:
	v_ldexp_f64 v[14:15], -v[20:21], v24
	v_cmp_nlt_f64_e64 vcc_lo, 0x40900000, |v[16:17]|
	v_cndmask_b32_e32 v15, 0xfff00000, v15, vcc_lo
	v_cndmask_b32_e32 v14, 0, v14, vcc_lo
	v_mul_f64 v[14:15], v[14:15], v[18:19]
.LBB0_28:
	s_or_b32 exec_lo, exec_lo, s8
                                        ; implicit-def: $vgpr16_vgpr17
.LBB0_29:
	s_andn2_saveexec_b32 s8, s5
	s_cbranch_execz .LBB0_35
; %bb.30:
	v_and_b32_e32 v15, 0x7fffffff, v17
	v_mov_b32_e32 v14, v16
	s_mov_b32 s10, 0xea87b950
	s_mov_b32 s11, 0x3c545b8a
	;; [unrolled: 1-line block ×4, first 2 shown]
	v_div_scale_f64 v[18:19], null, v[14:15], v[14:15], 0x40400000
	v_div_scale_f64 v[14:15], vcc_lo, 0x40400000, v[14:15], 0x40400000
	v_cmp_ngt_f64_e64 s5, 0, v[16:17]
	v_rcp_f64_e32 v[20:21], v[18:19]
	v_fma_f64 v[24:25], -v[18:19], v[20:21], 1.0
	v_fma_f64 v[20:21], v[20:21], v[24:25], v[20:21]
	v_fma_f64 v[24:25], -v[18:19], v[20:21], 1.0
	v_fma_f64 v[20:21], v[20:21], v[24:25], v[20:21]
	v_mul_f64 v[24:25], v[14:15], v[20:21]
	v_fma_f64 v[14:15], -v[18:19], v[24:25], v[14:15]
	v_div_fmas_f64 v[14:15], v[14:15], v[20:21], v[24:25]
	v_cmp_nlt_f64_e64 vcc_lo, 0x40900000, |v[16:17]|
	v_div_fixup_f64 v[14:15], v[14:15], |v[16:17]|, 0x40400000
	v_add_f64 v[14:15], v[14:15], -2.0
	v_fma_f64 v[18:19], v[14:15], s[12:13], s[10:11]
	s_mov_b32 s13, 0xbc61556d
	s_mov_b32 s10, 0xb2532277
	;; [unrolled: 1-line block ×3, first 2 shown]
	v_fma_f64 v[20:21], v[14:15], v[18:19], s[12:13]
	s_mov_b32 s12, 0x6a5dcb37
	s_mov_b32 s13, 0x3e5ade15
	v_add_f64 v[20:21], v[20:21], s[10:11]
	s_mov_b32 s10, 0x9c773320
	s_mov_b32 s11, 0xbc82806c
	v_fma_f64 v[18:19], v[14:15], v[20:21], -v[18:19]
	v_add_f64 v[18:19], v[18:19], s[10:11]
	s_mov_b32 s10, 0xfceb588a
	s_mov_b32 s11, 0x3cb55915
	v_fma_f64 v[20:21], v[14:15], v[18:19], -v[20:21]
	;; [unrolled: 4-line block ×14, first 2 shown]
	v_add_f64 v[20:21], v[20:21], s[10:11]
	s_mov_b32 s10, 0x652b82fe
	s_mov_b32 s11, 0x3ff71547
	v_mul_f64 v[24:25], |v[16:17]|, s[10:11]
	s_mov_b32 s10, 0x5423dd80
	s_mov_b32 s11, 0xbe0334ca
	v_fma_f64 v[18:19], v[14:15], v[20:21], -v[18:19]
	v_rndne_f64_e32 v[24:25], v[24:25]
	v_add_f64 v[18:19], v[18:19], s[10:11]
	s_mov_b32 s10, 0xfefa39ef
	s_mov_b32 s11, 0xbfe62e42
	v_fma_f64 v[26:27], v[24:25], s[10:11], |v[16:17]|
	s_mov_b32 s10, 0x9ad53528
	s_mov_b32 s11, 0xbe30790b
	v_fma_f64 v[20:21], v[14:15], v[18:19], -v[20:21]
	v_add_f64 v[20:21], v[20:21], s[10:11]
	s_mov_b32 s10, 0x3b39803f
	s_mov_b32 s11, 0xbc7abc9e
	v_fma_f64 v[26:27], v[24:25], s[10:11], v[26:27]
	s_mov_b32 s10, 0xfca7ab0c
	s_mov_b32 s11, 0x3e928af3
	v_cvt_i32_f64_e32 v24, v[24:25]
	v_fma_f64 v[18:19], v[14:15], v[20:21], -v[18:19]
	v_fma_f64 v[28:29], v[26:27], s[12:13], s[10:11]
	s_mov_b32 s10, 0x94bb46c1
	s_mov_b32 s11, 0xbe5c4153
	v_add_f64 v[18:19], v[18:19], s[10:11]
	s_mov_b32 s10, 0x623fde64
	s_mov_b32 s11, 0x3ec71dee
	v_fma_f64 v[28:29], v[26:27], v[28:29], s[10:11]
	s_mov_b32 s10, 0x7c89e6b0
	s_mov_b32 s11, 0x3efa0199
	v_fma_f64 v[20:21], v[14:15], v[18:19], -v[20:21]
	v_fma_f64 v[28:29], v[26:27], v[28:29], s[10:11]
	s_mov_b32 s10, 0x2e9e5443
	s_mov_b32 s11, 0xbe90dbfd
	v_add_f64 v[20:21], v[20:21], s[10:11]
	s_mov_b32 s10, 0x14761f6e
	s_mov_b32 s11, 0x3f2a01a0
	v_fma_f64 v[28:29], v[26:27], v[28:29], s[10:11]
	s_mov_b32 s10, 0x1852b7b0
	s_mov_b32 s11, 0x3f56c16c
	v_fma_f64 v[18:19], v[14:15], v[20:21], -v[18:19]
	v_fma_f64 v[28:29], v[26:27], v[28:29], s[10:11]
	s_mov_b32 s10, 0x49ca0373
	s_mov_b32 s11, 0xbed048df
	v_add_f64 v[18:19], v[18:19], s[10:11]
	s_mov_b32 s10, 0x11122322
	s_mov_b32 s11, 0x3f811111
	v_fma_f64 v[28:29], v[26:27], v[28:29], s[10:11]
	s_mov_b32 s10, 0x555502a1
	s_mov_b32 s11, 0x3fa55555
	v_fma_f64 v[20:21], v[14:15], v[18:19], -v[20:21]
	v_fma_f64 v[28:29], v[26:27], v[28:29], s[10:11]
	s_mov_b32 s10, 0x804aa9a6
	s_mov_b32 s11, 0xbf1cfd7f
	v_add_f64 v[20:21], v[20:21], s[10:11]
	s_mov_b32 s10, 0x55555511
	s_mov_b32 s11, 0x3fc55555
	v_fma_f64 v[28:29], v[26:27], v[28:29], s[10:11]
	s_mov_b32 s10, 11
	s_mov_b32 s11, 0x3fe00000
	v_fma_f64 v[18:19], v[14:15], v[20:21], -v[18:19]
	v_fma_f64 v[28:29], v[26:27], v[28:29], s[10:11]
	s_mov_b32 s10, 0x53fcdb4c
	s_mov_b32 s11, 0xbf83fda0
	v_add_f64 v[18:19], v[18:19], s[10:11]
	s_mov_b32 s10, 0xb55b1514
	s_mov_b32 s11, 0x3fe8ea18
	v_fma_f64 v[28:29], v[26:27], v[28:29], 1.0
	v_fma_f64 v[14:15], v[14:15], v[18:19], -v[20:21]
	v_fma_f64 v[18:19], v[26:27], v[28:29], 1.0
	v_add_f64 v[14:15], v[14:15], s[10:11]
	v_ldexp_f64 v[18:19], v[18:19], v24
	v_add_f64 v[20:21], v[14:15], -v[20:21]
	v_cndmask_b32_e32 v19, 0x7ff00000, v19, vcc_lo
	v_cndmask_b32_e32 v18, 0, v18, vcc_lo
	s_and_saveexec_b32 s9, s5
	s_xor_b32 s5, exec_lo, s9
                                        ; implicit-def: $vgpr14_vgpr15
	s_cbranch_execz .LBB0_32
; %bb.31:
	v_cmp_gt_f64_e64 s9, 0x10000000, |v[16:17]|
	v_mul_f64 v[20:21], v[20:21], 0.5
	v_cndmask_b32_e64 v14, 0, 0x100, s9
	v_mul_f64 v[18:19], v[18:19], v[20:21]
	v_ldexp_f64 v[14:15], |v[16:17]|, v14
	v_rsq_f64_e32 v[16:17], v[14:15]
	v_cmp_class_f64_e64 vcc_lo, v[14:15], 0x260
	v_mul_f64 v[24:25], v[14:15], v[16:17]
	v_mul_f64 v[16:17], v[16:17], 0.5
	v_fma_f64 v[26:27], -v[16:17], v[24:25], 0.5
	v_fma_f64 v[24:25], v[24:25], v[26:27], v[24:25]
	v_fma_f64 v[16:17], v[16:17], v[26:27], v[16:17]
	v_fma_f64 v[26:27], -v[24:25], v[24:25], v[14:15]
	v_fma_f64 v[24:25], v[26:27], v[16:17], v[24:25]
	v_fma_f64 v[26:27], -v[24:25], v[24:25], v[14:15]
	v_fma_f64 v[16:17], v[26:27], v[16:17], v[24:25]
	v_cndmask_b32_e64 v24, 0, 0xffffff80, s9
	v_ldexp_f64 v[16:17], v[16:17], v24
	v_cndmask_b32_e32 v15, v17, v15, vcc_lo
	v_cndmask_b32_e32 v14, v16, v14, vcc_lo
	v_div_scale_f64 v[16:17], null, v[14:15], v[14:15], v[18:19]
	v_rcp_f64_e32 v[20:21], v[16:17]
	v_fma_f64 v[24:25], -v[16:17], v[20:21], 1.0
	v_fma_f64 v[20:21], v[20:21], v[24:25], v[20:21]
	v_fma_f64 v[24:25], -v[16:17], v[20:21], 1.0
	v_fma_f64 v[20:21], v[20:21], v[24:25], v[20:21]
	v_div_scale_f64 v[24:25], vcc_lo, v[18:19], v[14:15], v[18:19]
	v_mul_f64 v[26:27], v[24:25], v[20:21]
	v_fma_f64 v[16:17], -v[16:17], v[26:27], v[24:25]
	v_div_fmas_f64 v[16:17], v[16:17], v[20:21], v[26:27]
                                        ; implicit-def: $vgpr20_vgpr21
	v_div_fixup_f64 v[14:15], v[16:17], v[14:15], v[18:19]
                                        ; implicit-def: $vgpr16_vgpr17
                                        ; implicit-def: $vgpr18_vgpr19
.LBB0_32:
	s_andn2_saveexec_b32 s5, s5
	s_cbranch_execz .LBB0_34
; %bb.33:
	v_cmp_gt_f64_e64 s9, 0x10000000, |v[16:17]|
	v_mul_f64 v[20:21], v[20:21], -0.5
	v_cndmask_b32_e64 v14, 0, 0x100, s9
	v_mul_f64 v[18:19], v[18:19], v[20:21]
	v_ldexp_f64 v[14:15], |v[16:17]|, v14
	v_rsq_f64_e32 v[16:17], v[14:15]
	v_cmp_class_f64_e64 vcc_lo, v[14:15], 0x260
	v_mul_f64 v[24:25], v[14:15], v[16:17]
	v_mul_f64 v[16:17], v[16:17], 0.5
	v_fma_f64 v[26:27], -v[16:17], v[24:25], 0.5
	v_fma_f64 v[24:25], v[24:25], v[26:27], v[24:25]
	v_fma_f64 v[16:17], v[16:17], v[26:27], v[16:17]
	v_fma_f64 v[26:27], -v[24:25], v[24:25], v[14:15]
	v_fma_f64 v[24:25], v[26:27], v[16:17], v[24:25]
	v_fma_f64 v[26:27], -v[24:25], v[24:25], v[14:15]
	v_fma_f64 v[16:17], v[26:27], v[16:17], v[24:25]
	v_cndmask_b32_e64 v24, 0, 0xffffff80, s9
	v_ldexp_f64 v[16:17], v[16:17], v24
	v_cndmask_b32_e32 v15, v17, v15, vcc_lo
	v_cndmask_b32_e32 v14, v16, v14, vcc_lo
	v_div_scale_f64 v[16:17], null, v[14:15], v[14:15], v[18:19]
	v_rcp_f64_e32 v[20:21], v[16:17]
	v_fma_f64 v[24:25], -v[16:17], v[20:21], 1.0
	v_fma_f64 v[20:21], v[20:21], v[24:25], v[20:21]
	v_fma_f64 v[24:25], -v[16:17], v[20:21], 1.0
	v_fma_f64 v[20:21], v[20:21], v[24:25], v[20:21]
	v_div_scale_f64 v[24:25], vcc_lo, v[18:19], v[14:15], v[18:19]
	v_mul_f64 v[26:27], v[24:25], v[20:21]
	v_fma_f64 v[16:17], -v[16:17], v[26:27], v[24:25]
	v_div_fmas_f64 v[16:17], v[16:17], v[20:21], v[26:27]
	v_div_fixup_f64 v[14:15], v[16:17], v[14:15], v[18:19]
.LBB0_34:
	s_or_b32 exec_lo, exec_lo, s5
.LBB0_35:
	s_or_b32 exec_lo, exec_lo, s8
.LBB0_36:
	s_or_b32 exec_lo, exec_lo, s7
	s_waitcnt vmcnt(0) lgkmcnt(0)
	v_add_nc_u32_e32 v16, 0x200, v22
	s_mov_b32 s7, exec_lo
	v_cmpx_lt_i32_e64 v16, v4
	s_cbranch_execz .LBB0_50
; %bb.37:
	v_cmp_ge_f64_e64 s5, 0x40200000, |v[8:9]|
	s_and_saveexec_b32 s8, s5
	s_xor_b32 s5, exec_lo, s8
                                        ; implicit-def: $vgpr12_vgpr13
	s_cbranch_execz .LBB0_43
; %bb.38:
	v_fma_f64 v[12:13], |v[8:9]|, 0.5, -2.0
	s_mov_b32 s8, 0xc38a0576
	s_mov_b32 s9, 0xbc7857d0
	s_mov_b32 s11, 0x3c499f2a
	s_mov_b32 s10, 0xc3c4014
	v_fma_f64 v[16:17], v[12:13], s[10:11], s[8:9]
	s_mov_b32 s11, 0xbc499f2a
	s_mov_b32 s8, 0xe593bfac
	;; [unrolled: 1-line block ×3, first 2 shown]
	v_fma_f64 v[18:19], v[12:13], v[16:17], s[10:11]
	s_mov_b32 s10, 0x3b39803f
	s_mov_b32 s11, 0xbc7abc9e
	v_add_f64 v[18:19], v[18:19], s[8:9]
	s_mov_b32 s8, 0x7e0d1573
	s_mov_b32 s9, 0xbcd3eaaa
	v_fma_f64 v[16:17], v[12:13], v[18:19], -v[16:17]
	v_add_f64 v[16:17], v[16:17], s[8:9]
	s_mov_b32 s8, 0x615290c
	s_mov_b32 s9, 0x3d011d7f
	v_fma_f64 v[18:19], v[12:13], v[16:17], -v[18:19]
	;; [unrolled: 4-line block ×20, first 2 shown]
	v_add_f64 v[18:19], v[18:19], s[8:9]
	s_mov_b32 s8, 0x652b82fe
	s_mov_b32 s9, 0x3ff71547
	v_mul_f64 v[20:21], |v[8:9]|, s[8:9]
	s_mov_b32 s8, 0x7913a26a
	s_mov_b32 s9, 0xbf85a29f
	v_fma_f64 v[16:17], v[12:13], v[18:19], -v[16:17]
	v_rndne_f64_e32 v[20:21], v[20:21]
	v_add_f64 v[16:17], v[16:17], s[8:9]
	s_mov_b32 s8, 0xfefa39ef
	s_mov_b32 s9, 0xbfe62e42
	v_fma_f64 v[24:25], v[20:21], s[8:9], |v[8:9]|
	s_mov_b32 s8, 0xe7bb2349
	s_mov_b32 s9, 0x3f9951e3
	v_fma_f64 v[18:19], v[12:13], v[16:17], -v[18:19]
	v_fma_f64 v[24:25], v[20:21], s[10:11], v[24:25]
	s_mov_b32 s10, 0x6a5dcb37
	s_mov_b32 s11, 0x3e5ade15
	v_cvt_i32_f64_e32 v20, v[20:21]
	v_add_f64 v[18:19], v[18:19], s[8:9]
	s_mov_b32 s8, 0xfca7ab0c
	s_mov_b32 s9, 0x3e928af3
	v_fma_f64 v[26:27], v[24:25], s[10:11], s[8:9]
	s_mov_b32 s8, 0x537c9ebc
	s_mov_b32 s10, 0x623fde64
	;; [unrolled: 1-line block ×4, first 2 shown]
	v_fma_f64 v[16:17], v[12:13], v[18:19], -v[16:17]
	v_fma_f64 v[26:27], v[24:25], v[26:27], s[10:11]
	s_mov_b32 s10, 0x14761f6e
	s_mov_b32 s11, 0x3f2a01a0
	v_add_f64 v[16:17], v[16:17], s[8:9]
	s_mov_b32 s8, 0x7c89e6b0
	s_mov_b32 s9, 0x3efa0199
	v_fma_f64 v[26:27], v[24:25], v[26:27], s[8:9]
	s_mov_b32 s8, 0xd536f53c
	s_mov_b32 s9, 0x3fba46da
	v_fma_f64 v[18:19], v[12:13], v[16:17], -v[18:19]
	v_fma_f64 v[26:27], v[24:25], v[26:27], s[10:11]
	s_mov_b32 s10, 0x11122322
	s_mov_b32 s11, 0x3f811111
	v_add_f64 v[18:19], v[18:19], s[8:9]
	s_mov_b32 s8, 0x1852b7b0
	s_mov_b32 s9, 0x3f56c16c
	v_fma_f64 v[26:27], v[24:25], v[26:27], s[8:9]
	s_mov_b32 s8, 0x469192e
	s_mov_b32 s9, 0xbfc694d1
	;; [unrolled: 10-line block ×3, first 2 shown]
	v_fma_f64 v[12:13], v[12:13], v[16:17], -v[18:19]
	v_fma_f64 v[16:17], v[24:25], v[26:27], s[10:11]
	v_add_f64 v[12:13], v[12:13], s[8:9]
	s_mov_b32 s8, 11
	s_mov_b32 s9, 0x3fe00000
	v_fma_f64 v[16:17], v[24:25], v[16:17], s[8:9]
	s_mov_b32 s8, exec_lo
	v_add_f64 v[12:13], v[12:13], -v[18:19]
	v_fma_f64 v[16:17], v[24:25], v[16:17], 1.0
	v_mul_f64 v[12:13], v[12:13], 0.5
	v_fma_f64 v[18:19], v[24:25], v[16:17], 1.0
	v_mul_f64 v[16:17], |v[8:9]|, v[12:13]
	v_cmpx_ngt_f64_e32 0, v[8:9]
	s_xor_b32 s8, exec_lo, s8
                                        ; implicit-def: $vgpr12_vgpr13
	s_cbranch_execz .LBB0_40
; %bb.39:
	v_ldexp_f64 v[12:13], v[18:19], v20
	v_cmp_nlt_f64_e64 vcc_lo, 0x40900000, |v[8:9]|
                                        ; implicit-def: $vgpr18_vgpr19
                                        ; implicit-def: $vgpr20
	v_cndmask_b32_e32 v9, 0x7ff00000, v13, vcc_lo
	v_cndmask_b32_e32 v8, 0, v12, vcc_lo
	v_mul_f64 v[12:13], v[8:9], v[16:17]
                                        ; implicit-def: $vgpr8_vgpr9
                                        ; implicit-def: $vgpr16_vgpr17
.LBB0_40:
	s_andn2_saveexec_b32 s8, s8
	s_cbranch_execz .LBB0_42
; %bb.41:
	v_ldexp_f64 v[12:13], -v[18:19], v20
	v_cmp_nlt_f64_e64 vcc_lo, 0x40900000, |v[8:9]|
	v_cndmask_b32_e32 v9, 0xfff00000, v13, vcc_lo
	v_cndmask_b32_e32 v8, 0, v12, vcc_lo
	v_mul_f64 v[12:13], v[8:9], v[16:17]
.LBB0_42:
	s_or_b32 exec_lo, exec_lo, s8
                                        ; implicit-def: $vgpr8_vgpr9
.LBB0_43:
	s_andn2_saveexec_b32 s8, s5
	s_cbranch_execz .LBB0_49
; %bb.44:
	v_and_b32_e32 v13, 0x7fffffff, v9
	v_mov_b32_e32 v12, v8
	s_mov_b32 s10, 0xea87b950
	s_mov_b32 s11, 0x3c545b8a
	s_mov_b32 s13, 0x3c61556d
	s_mov_b32 s12, 0xb352e8e6
	v_div_scale_f64 v[16:17], null, v[12:13], v[12:13], 0x40400000
	v_div_scale_f64 v[12:13], vcc_lo, 0x40400000, v[12:13], 0x40400000
	v_cmp_ngt_f64_e64 s5, 0, v[8:9]
	v_rcp_f64_e32 v[18:19], v[16:17]
	v_fma_f64 v[20:21], -v[16:17], v[18:19], 1.0
	v_fma_f64 v[18:19], v[18:19], v[20:21], v[18:19]
	v_fma_f64 v[20:21], -v[16:17], v[18:19], 1.0
	v_fma_f64 v[18:19], v[18:19], v[20:21], v[18:19]
	v_mul_f64 v[20:21], v[12:13], v[18:19]
	v_fma_f64 v[12:13], -v[16:17], v[20:21], v[12:13]
	v_div_fmas_f64 v[12:13], v[12:13], v[18:19], v[20:21]
	v_cmp_nlt_f64_e64 vcc_lo, 0x40900000, |v[8:9]|
	v_div_fixup_f64 v[12:13], v[12:13], |v[8:9]|, 0x40400000
	v_add_f64 v[12:13], v[12:13], -2.0
	v_fma_f64 v[16:17], v[12:13], s[12:13], s[10:11]
	s_mov_b32 s13, 0xbc61556d
	s_mov_b32 s10, 0xb2532277
	;; [unrolled: 1-line block ×3, first 2 shown]
	v_fma_f64 v[18:19], v[12:13], v[16:17], s[12:13]
	s_mov_b32 s12, 0x6a5dcb37
	s_mov_b32 s13, 0x3e5ade15
	v_add_f64 v[18:19], v[18:19], s[10:11]
	s_mov_b32 s10, 0x9c773320
	s_mov_b32 s11, 0xbc82806c
	v_fma_f64 v[16:17], v[12:13], v[18:19], -v[16:17]
	v_add_f64 v[16:17], v[16:17], s[10:11]
	s_mov_b32 s10, 0xfceb588a
	s_mov_b32 s11, 0x3cb55915
	v_fma_f64 v[18:19], v[12:13], v[16:17], -v[18:19]
	;; [unrolled: 4-line block ×14, first 2 shown]
	v_add_f64 v[18:19], v[18:19], s[10:11]
	s_mov_b32 s10, 0x652b82fe
	s_mov_b32 s11, 0x3ff71547
	v_mul_f64 v[20:21], |v[8:9]|, s[10:11]
	s_mov_b32 s10, 0x5423dd80
	s_mov_b32 s11, 0xbe0334ca
	v_fma_f64 v[16:17], v[12:13], v[18:19], -v[16:17]
	v_rndne_f64_e32 v[20:21], v[20:21]
	v_add_f64 v[16:17], v[16:17], s[10:11]
	s_mov_b32 s10, 0xfefa39ef
	s_mov_b32 s11, 0xbfe62e42
	v_fma_f64 v[24:25], v[20:21], s[10:11], |v[8:9]|
	s_mov_b32 s10, 0x9ad53528
	s_mov_b32 s11, 0xbe30790b
	v_fma_f64 v[18:19], v[12:13], v[16:17], -v[18:19]
	v_add_f64 v[18:19], v[18:19], s[10:11]
	s_mov_b32 s10, 0x3b39803f
	s_mov_b32 s11, 0xbc7abc9e
	v_fma_f64 v[24:25], v[20:21], s[10:11], v[24:25]
	s_mov_b32 s10, 0xfca7ab0c
	s_mov_b32 s11, 0x3e928af3
	v_cvt_i32_f64_e32 v20, v[20:21]
	v_fma_f64 v[16:17], v[12:13], v[18:19], -v[16:17]
	v_fma_f64 v[26:27], v[24:25], s[12:13], s[10:11]
	s_mov_b32 s10, 0x94bb46c1
	s_mov_b32 s11, 0xbe5c4153
	v_add_f64 v[16:17], v[16:17], s[10:11]
	s_mov_b32 s10, 0x623fde64
	s_mov_b32 s11, 0x3ec71dee
	v_fma_f64 v[26:27], v[24:25], v[26:27], s[10:11]
	s_mov_b32 s10, 0x7c89e6b0
	s_mov_b32 s11, 0x3efa0199
	v_fma_f64 v[18:19], v[12:13], v[16:17], -v[18:19]
	v_fma_f64 v[26:27], v[24:25], v[26:27], s[10:11]
	s_mov_b32 s10, 0x2e9e5443
	s_mov_b32 s11, 0xbe90dbfd
	v_add_f64 v[18:19], v[18:19], s[10:11]
	s_mov_b32 s10, 0x14761f6e
	s_mov_b32 s11, 0x3f2a01a0
	v_fma_f64 v[26:27], v[24:25], v[26:27], s[10:11]
	s_mov_b32 s10, 0x1852b7b0
	s_mov_b32 s11, 0x3f56c16c
	;; [unrolled: 10-line block ×4, first 2 shown]
	v_fma_f64 v[16:17], v[12:13], v[18:19], -v[16:17]
	v_fma_f64 v[26:27], v[24:25], v[26:27], s[10:11]
	s_mov_b32 s10, 0x53fcdb4c
	s_mov_b32 s11, 0xbf83fda0
	v_add_f64 v[16:17], v[16:17], s[10:11]
	s_mov_b32 s10, 0xb55b1514
	s_mov_b32 s11, 0x3fe8ea18
	v_fma_f64 v[26:27], v[24:25], v[26:27], 1.0
	v_fma_f64 v[12:13], v[12:13], v[16:17], -v[18:19]
	v_fma_f64 v[16:17], v[24:25], v[26:27], 1.0
	v_add_f64 v[12:13], v[12:13], s[10:11]
	v_ldexp_f64 v[16:17], v[16:17], v20
	v_add_f64 v[18:19], v[12:13], -v[18:19]
	v_cndmask_b32_e32 v17, 0x7ff00000, v17, vcc_lo
	v_cndmask_b32_e32 v16, 0, v16, vcc_lo
	s_and_saveexec_b32 s9, s5
	s_xor_b32 s5, exec_lo, s9
                                        ; implicit-def: $vgpr12_vgpr13
	s_cbranch_execz .LBB0_46
; %bb.45:
	v_cmp_gt_f64_e64 s9, 0x10000000, |v[8:9]|
	v_mul_f64 v[18:19], v[18:19], 0.5
	v_cndmask_b32_e64 v12, 0, 0x100, s9
	v_mul_f64 v[16:17], v[16:17], v[18:19]
	v_ldexp_f64 v[8:9], |v[8:9]|, v12
	v_rsq_f64_e32 v[12:13], v[8:9]
	v_cmp_class_f64_e64 vcc_lo, v[8:9], 0x260
	v_mul_f64 v[20:21], v[8:9], v[12:13]
	v_mul_f64 v[12:13], v[12:13], 0.5
	v_fma_f64 v[24:25], -v[12:13], v[20:21], 0.5
	v_fma_f64 v[20:21], v[20:21], v[24:25], v[20:21]
	v_fma_f64 v[12:13], v[12:13], v[24:25], v[12:13]
	v_fma_f64 v[24:25], -v[20:21], v[20:21], v[8:9]
	v_fma_f64 v[20:21], v[24:25], v[12:13], v[20:21]
	v_fma_f64 v[24:25], -v[20:21], v[20:21], v[8:9]
	v_fma_f64 v[12:13], v[24:25], v[12:13], v[20:21]
	v_cndmask_b32_e64 v20, 0, 0xffffff80, s9
	v_ldexp_f64 v[12:13], v[12:13], v20
	v_cndmask_b32_e32 v9, v13, v9, vcc_lo
	v_cndmask_b32_e32 v8, v12, v8, vcc_lo
	v_div_scale_f64 v[12:13], null, v[8:9], v[8:9], v[16:17]
	v_rcp_f64_e32 v[18:19], v[12:13]
	v_fma_f64 v[20:21], -v[12:13], v[18:19], 1.0
	v_fma_f64 v[18:19], v[18:19], v[20:21], v[18:19]
	v_fma_f64 v[20:21], -v[12:13], v[18:19], 1.0
	v_fma_f64 v[18:19], v[18:19], v[20:21], v[18:19]
	v_div_scale_f64 v[20:21], vcc_lo, v[16:17], v[8:9], v[16:17]
	v_mul_f64 v[24:25], v[20:21], v[18:19]
	v_fma_f64 v[12:13], -v[12:13], v[24:25], v[20:21]
	v_div_fmas_f64 v[12:13], v[12:13], v[18:19], v[24:25]
                                        ; implicit-def: $vgpr18_vgpr19
	v_div_fixup_f64 v[12:13], v[12:13], v[8:9], v[16:17]
                                        ; implicit-def: $vgpr8_vgpr9
                                        ; implicit-def: $vgpr16_vgpr17
.LBB0_46:
	s_andn2_saveexec_b32 s5, s5
	s_cbranch_execz .LBB0_48
; %bb.47:
	v_cmp_gt_f64_e64 s9, 0x10000000, |v[8:9]|
	v_mul_f64 v[18:19], v[18:19], -0.5
	v_cndmask_b32_e64 v12, 0, 0x100, s9
	v_mul_f64 v[16:17], v[16:17], v[18:19]
	v_ldexp_f64 v[8:9], |v[8:9]|, v12
	v_rsq_f64_e32 v[12:13], v[8:9]
	v_cmp_class_f64_e64 vcc_lo, v[8:9], 0x260
	v_mul_f64 v[20:21], v[8:9], v[12:13]
	v_mul_f64 v[12:13], v[12:13], 0.5
	v_fma_f64 v[24:25], -v[12:13], v[20:21], 0.5
	v_fma_f64 v[20:21], v[20:21], v[24:25], v[20:21]
	v_fma_f64 v[12:13], v[12:13], v[24:25], v[12:13]
	v_fma_f64 v[24:25], -v[20:21], v[20:21], v[8:9]
	v_fma_f64 v[20:21], v[24:25], v[12:13], v[20:21]
	v_fma_f64 v[24:25], -v[20:21], v[20:21], v[8:9]
	v_fma_f64 v[12:13], v[24:25], v[12:13], v[20:21]
	v_cndmask_b32_e64 v20, 0, 0xffffff80, s9
	v_ldexp_f64 v[12:13], v[12:13], v20
	v_cndmask_b32_e32 v9, v13, v9, vcc_lo
	v_cndmask_b32_e32 v8, v12, v8, vcc_lo
	v_div_scale_f64 v[12:13], null, v[8:9], v[8:9], v[16:17]
	v_rcp_f64_e32 v[18:19], v[12:13]
	v_fma_f64 v[20:21], -v[12:13], v[18:19], 1.0
	v_fma_f64 v[18:19], v[18:19], v[20:21], v[18:19]
	v_fma_f64 v[20:21], -v[12:13], v[18:19], 1.0
	v_fma_f64 v[18:19], v[18:19], v[20:21], v[18:19]
	v_div_scale_f64 v[20:21], vcc_lo, v[16:17], v[8:9], v[16:17]
	v_mul_f64 v[24:25], v[20:21], v[18:19]
	v_fma_f64 v[12:13], -v[12:13], v[24:25], v[20:21]
	v_div_fmas_f64 v[12:13], v[12:13], v[18:19], v[24:25]
	v_div_fixup_f64 v[12:13], v[12:13], v[8:9], v[16:17]
.LBB0_48:
	s_or_b32 exec_lo, exec_lo, s5
.LBB0_49:
	s_or_b32 exec_lo, exec_lo, s8
.LBB0_50:
	s_or_b32 exec_lo, exec_lo, s7
	v_add_nc_u32_e32 v8, 0x300, v22
	s_mov_b32 s7, exec_lo
	v_cmpx_lt_i32_e64 v8, v4
	s_cbranch_execnz .LBB0_56
; %bb.51:
	s_or_b32 exec_lo, exec_lo, s7
	s_and_saveexec_b32 s5, s4
	s_xor_b32 s4, exec_lo, s5
	s_cbranch_execnz .LBB0_69
.LBB0_52:
	s_or_b32 exec_lo, exec_lo, s4
	s_mov_b32 s4, exec_lo
	v_cmpx_lt_i32_e64 v22, v4
	s_cbranch_execnz .LBB0_70
.LBB0_53:
	s_or_b32 exec_lo, exec_lo, s4
	s_mov_b32 s4, exec_lo
	v_cmpx_lt_i32_e64 v22, v4
	s_cbranch_execnz .LBB0_71
.LBB0_54:
	s_or_b32 exec_lo, exec_lo, s4
	s_mov_b32 s4, exec_lo
	v_cmpx_lt_i32_e64 v22, v4
	s_cbranch_execnz .LBB0_72
.LBB0_55:
	s_or_b32 exec_lo, exec_lo, s4
	s_waitcnt lgkmcnt(0)
	s_setpc_b64 s[30:31]
.LBB0_56:
	v_cmp_ge_f64_e64 s5, 0x40200000, |v[6:7]|
	s_and_saveexec_b32 s8, s5
	s_xor_b32 s5, exec_lo, s8
                                        ; implicit-def: $vgpr10_vgpr11
	s_cbranch_execz .LBB0_62
; %bb.57:
	v_fma_f64 v[8:9], |v[6:7]|, 0.5, -2.0
	s_mov_b32 s8, 0xc38a0576
	s_mov_b32 s9, 0xbc7857d0
	;; [unrolled: 1-line block ×4, first 2 shown]
	v_fma_f64 v[10:11], v[8:9], s[10:11], s[8:9]
	s_mov_b32 s11, 0xbc499f2a
	s_mov_b32 s8, 0xe593bfac
	;; [unrolled: 1-line block ×3, first 2 shown]
	v_fma_f64 v[16:17], v[8:9], v[10:11], s[10:11]
	s_mov_b32 s10, 0x3b39803f
	s_mov_b32 s11, 0xbc7abc9e
	v_add_f64 v[16:17], v[16:17], s[8:9]
	s_mov_b32 s8, 0x7e0d1573
	s_mov_b32 s9, 0xbcd3eaaa
	v_fma_f64 v[10:11], v[8:9], v[16:17], -v[10:11]
	v_add_f64 v[10:11], v[10:11], s[8:9]
	s_mov_b32 s8, 0x615290c
	s_mov_b32 s9, 0x3d011d7f
	v_fma_f64 v[16:17], v[8:9], v[10:11], -v[16:17]
	;; [unrolled: 4-line block ×20, first 2 shown]
	v_add_f64 v[16:17], v[16:17], s[8:9]
	s_mov_b32 s8, 0x652b82fe
	s_mov_b32 s9, 0x3ff71547
	v_mul_f64 v[18:19], |v[6:7]|, s[8:9]
	s_mov_b32 s8, 0x7913a26a
	s_mov_b32 s9, 0xbf85a29f
	v_fma_f64 v[10:11], v[8:9], v[16:17], -v[10:11]
	v_rndne_f64_e32 v[18:19], v[18:19]
	v_add_f64 v[10:11], v[10:11], s[8:9]
	s_mov_b32 s8, 0xfefa39ef
	s_mov_b32 s9, 0xbfe62e42
	v_fma_f64 v[20:21], v[18:19], s[8:9], |v[6:7]|
	s_mov_b32 s8, 0xe7bb2349
	s_mov_b32 s9, 0x3f9951e3
	v_fma_f64 v[16:17], v[8:9], v[10:11], -v[16:17]
	v_fma_f64 v[20:21], v[18:19], s[10:11], v[20:21]
	s_mov_b32 s10, 0x6a5dcb37
	s_mov_b32 s11, 0x3e5ade15
	v_cvt_i32_f64_e32 v18, v[18:19]
	v_add_f64 v[16:17], v[16:17], s[8:9]
	s_mov_b32 s8, 0xfca7ab0c
	s_mov_b32 s9, 0x3e928af3
	v_fma_f64 v[24:25], v[20:21], s[10:11], s[8:9]
	s_mov_b32 s8, 0x537c9ebc
	s_mov_b32 s10, 0x623fde64
	;; [unrolled: 1-line block ×4, first 2 shown]
	v_fma_f64 v[10:11], v[8:9], v[16:17], -v[10:11]
	v_fma_f64 v[24:25], v[20:21], v[24:25], s[10:11]
	s_mov_b32 s10, 0x14761f6e
	s_mov_b32 s11, 0x3f2a01a0
	v_add_f64 v[10:11], v[10:11], s[8:9]
	s_mov_b32 s8, 0x7c89e6b0
	s_mov_b32 s9, 0x3efa0199
	v_fma_f64 v[24:25], v[20:21], v[24:25], s[8:9]
	s_mov_b32 s8, 0xd536f53c
	s_mov_b32 s9, 0x3fba46da
	v_fma_f64 v[16:17], v[8:9], v[10:11], -v[16:17]
	v_fma_f64 v[24:25], v[20:21], v[24:25], s[10:11]
	s_mov_b32 s10, 0x11122322
	s_mov_b32 s11, 0x3f811111
	v_add_f64 v[16:17], v[16:17], s[8:9]
	s_mov_b32 s8, 0x1852b7b0
	s_mov_b32 s9, 0x3f56c16c
	v_fma_f64 v[24:25], v[20:21], v[24:25], s[8:9]
	s_mov_b32 s8, 0x469192e
	s_mov_b32 s9, 0xbfc694d1
	;; [unrolled: 10-line block ×3, first 2 shown]
	v_fma_f64 v[8:9], v[8:9], v[10:11], -v[16:17]
	v_fma_f64 v[10:11], v[20:21], v[24:25], s[10:11]
	v_add_f64 v[8:9], v[8:9], s[8:9]
	s_mov_b32 s8, 11
	s_mov_b32 s9, 0x3fe00000
	v_fma_f64 v[10:11], v[20:21], v[10:11], s[8:9]
	s_mov_b32 s8, exec_lo
	v_add_f64 v[8:9], v[8:9], -v[16:17]
	v_fma_f64 v[10:11], v[20:21], v[10:11], 1.0
	v_mul_f64 v[8:9], v[8:9], 0.5
	v_fma_f64 v[16:17], v[20:21], v[10:11], 1.0
	v_mul_f64 v[8:9], |v[6:7]|, v[8:9]
	v_cmpx_ngt_f64_e32 0, v[6:7]
	s_xor_b32 s8, exec_lo, s8
                                        ; implicit-def: $vgpr10_vgpr11
	s_cbranch_execz .LBB0_59
; %bb.58:
	v_ldexp_f64 v[10:11], v[16:17], v18
	v_cmp_nlt_f64_e64 vcc_lo, 0x40900000, |v[6:7]|
                                        ; implicit-def: $vgpr16_vgpr17
                                        ; implicit-def: $vgpr18
	v_cndmask_b32_e32 v7, 0x7ff00000, v11, vcc_lo
	v_cndmask_b32_e32 v6, 0, v10, vcc_lo
	v_mul_f64 v[10:11], v[6:7], v[8:9]
                                        ; implicit-def: $vgpr6_vgpr7
                                        ; implicit-def: $vgpr8_vgpr9
.LBB0_59:
	s_andn2_saveexec_b32 s8, s8
	s_cbranch_execz .LBB0_61
; %bb.60:
	v_ldexp_f64 v[10:11], -v[16:17], v18
	v_cmp_nlt_f64_e64 vcc_lo, 0x40900000, |v[6:7]|
	v_cndmask_b32_e32 v7, 0xfff00000, v11, vcc_lo
	v_cndmask_b32_e32 v6, 0, v10, vcc_lo
	v_mul_f64 v[10:11], v[6:7], v[8:9]
.LBB0_61:
	s_or_b32 exec_lo, exec_lo, s8
                                        ; implicit-def: $vgpr6_vgpr7
.LBB0_62:
	s_andn2_saveexec_b32 s8, s5
	s_cbranch_execz .LBB0_68
; %bb.63:
	v_and_b32_e32 v9, 0x7fffffff, v7
	v_mov_b32_e32 v8, v6
	s_mov_b32 s10, 0xea87b950
	s_mov_b32 s11, 0x3c545b8a
	;; [unrolled: 1-line block ×4, first 2 shown]
	v_div_scale_f64 v[10:11], null, v[8:9], v[8:9], 0x40400000
	v_div_scale_f64 v[8:9], vcc_lo, 0x40400000, v[8:9], 0x40400000
	v_cmp_ngt_f64_e64 s5, 0, v[6:7]
	v_rcp_f64_e32 v[16:17], v[10:11]
	v_fma_f64 v[18:19], -v[10:11], v[16:17], 1.0
	v_fma_f64 v[16:17], v[16:17], v[18:19], v[16:17]
	v_fma_f64 v[18:19], -v[10:11], v[16:17], 1.0
	v_fma_f64 v[16:17], v[16:17], v[18:19], v[16:17]
	v_mul_f64 v[18:19], v[8:9], v[16:17]
	v_fma_f64 v[8:9], -v[10:11], v[18:19], v[8:9]
	v_div_fmas_f64 v[8:9], v[8:9], v[16:17], v[18:19]
	v_cmp_nlt_f64_e64 vcc_lo, 0x40900000, |v[6:7]|
	v_div_fixup_f64 v[8:9], v[8:9], |v[6:7]|, 0x40400000
	v_add_f64 v[8:9], v[8:9], -2.0
	v_fma_f64 v[10:11], v[8:9], s[12:13], s[10:11]
	s_mov_b32 s13, 0xbc61556d
	s_mov_b32 s10, 0xb2532277
	;; [unrolled: 1-line block ×3, first 2 shown]
	v_fma_f64 v[16:17], v[8:9], v[10:11], s[12:13]
	s_mov_b32 s12, 0x6a5dcb37
	s_mov_b32 s13, 0x3e5ade15
	v_add_f64 v[16:17], v[16:17], s[10:11]
	s_mov_b32 s10, 0x9c773320
	s_mov_b32 s11, 0xbc82806c
	v_fma_f64 v[10:11], v[8:9], v[16:17], -v[10:11]
	v_add_f64 v[10:11], v[10:11], s[10:11]
	s_mov_b32 s10, 0xfceb588a
	s_mov_b32 s11, 0x3cb55915
	v_fma_f64 v[16:17], v[8:9], v[10:11], -v[16:17]
	;; [unrolled: 4-line block ×14, first 2 shown]
	v_add_f64 v[16:17], v[16:17], s[10:11]
	s_mov_b32 s10, 0x652b82fe
	s_mov_b32 s11, 0x3ff71547
	v_mul_f64 v[18:19], |v[6:7]|, s[10:11]
	s_mov_b32 s10, 0x5423dd80
	s_mov_b32 s11, 0xbe0334ca
	v_fma_f64 v[10:11], v[8:9], v[16:17], -v[10:11]
	v_rndne_f64_e32 v[18:19], v[18:19]
	v_add_f64 v[10:11], v[10:11], s[10:11]
	s_mov_b32 s10, 0xfefa39ef
	s_mov_b32 s11, 0xbfe62e42
	v_fma_f64 v[20:21], v[18:19], s[10:11], |v[6:7]|
	s_mov_b32 s10, 0x9ad53528
	s_mov_b32 s11, 0xbe30790b
	v_fma_f64 v[16:17], v[8:9], v[10:11], -v[16:17]
	v_add_f64 v[16:17], v[16:17], s[10:11]
	s_mov_b32 s10, 0x3b39803f
	s_mov_b32 s11, 0xbc7abc9e
	v_fma_f64 v[20:21], v[18:19], s[10:11], v[20:21]
	s_mov_b32 s10, 0xfca7ab0c
	s_mov_b32 s11, 0x3e928af3
	v_cvt_i32_f64_e32 v18, v[18:19]
	v_fma_f64 v[10:11], v[8:9], v[16:17], -v[10:11]
	v_fma_f64 v[24:25], v[20:21], s[12:13], s[10:11]
	s_mov_b32 s10, 0x94bb46c1
	s_mov_b32 s11, 0xbe5c4153
	v_add_f64 v[10:11], v[10:11], s[10:11]
	s_mov_b32 s10, 0x623fde64
	s_mov_b32 s11, 0x3ec71dee
	v_fma_f64 v[24:25], v[20:21], v[24:25], s[10:11]
	s_mov_b32 s10, 0x7c89e6b0
	s_mov_b32 s11, 0x3efa0199
	v_fma_f64 v[16:17], v[8:9], v[10:11], -v[16:17]
	v_fma_f64 v[24:25], v[20:21], v[24:25], s[10:11]
	s_mov_b32 s10, 0x2e9e5443
	s_mov_b32 s11, 0xbe90dbfd
	v_add_f64 v[16:17], v[16:17], s[10:11]
	s_mov_b32 s10, 0x14761f6e
	s_mov_b32 s11, 0x3f2a01a0
	v_fma_f64 v[24:25], v[20:21], v[24:25], s[10:11]
	s_mov_b32 s10, 0x1852b7b0
	s_mov_b32 s11, 0x3f56c16c
	;; [unrolled: 10-line block ×4, first 2 shown]
	v_fma_f64 v[10:11], v[8:9], v[16:17], -v[10:11]
	v_fma_f64 v[24:25], v[20:21], v[24:25], s[10:11]
	s_mov_b32 s10, 0x53fcdb4c
	s_mov_b32 s11, 0xbf83fda0
	v_add_f64 v[10:11], v[10:11], s[10:11]
	s_mov_b32 s10, 0xb55b1514
	s_mov_b32 s11, 0x3fe8ea18
	v_fma_f64 v[24:25], v[20:21], v[24:25], 1.0
	v_fma_f64 v[8:9], v[8:9], v[10:11], -v[16:17]
	v_fma_f64 v[10:11], v[20:21], v[24:25], 1.0
	v_add_f64 v[8:9], v[8:9], s[10:11]
	v_ldexp_f64 v[10:11], v[10:11], v18
	v_add_f64 v[16:17], v[8:9], -v[16:17]
	v_cndmask_b32_e32 v9, 0x7ff00000, v11, vcc_lo
	v_cndmask_b32_e32 v8, 0, v10, vcc_lo
	s_and_saveexec_b32 s9, s5
	s_xor_b32 s5, exec_lo, s9
                                        ; implicit-def: $vgpr10_vgpr11
	s_cbranch_execz .LBB0_65
; %bb.64:
	v_cmp_gt_f64_e64 s9, 0x10000000, |v[6:7]|
	v_mul_f64 v[16:17], v[16:17], 0.5
	v_cndmask_b32_e64 v10, 0, 0x100, s9
	v_mul_f64 v[8:9], v[8:9], v[16:17]
	v_ldexp_f64 v[6:7], |v[6:7]|, v10
	v_rsq_f64_e32 v[10:11], v[6:7]
	v_cmp_class_f64_e64 vcc_lo, v[6:7], 0x260
	v_mul_f64 v[18:19], v[6:7], v[10:11]
	v_mul_f64 v[10:11], v[10:11], 0.5
	v_fma_f64 v[20:21], -v[10:11], v[18:19], 0.5
	v_fma_f64 v[18:19], v[18:19], v[20:21], v[18:19]
	v_fma_f64 v[10:11], v[10:11], v[20:21], v[10:11]
	v_fma_f64 v[20:21], -v[18:19], v[18:19], v[6:7]
	v_fma_f64 v[18:19], v[20:21], v[10:11], v[18:19]
	v_fma_f64 v[20:21], -v[18:19], v[18:19], v[6:7]
	v_fma_f64 v[10:11], v[20:21], v[10:11], v[18:19]
	v_cndmask_b32_e64 v18, 0, 0xffffff80, s9
	v_ldexp_f64 v[10:11], v[10:11], v18
	v_cndmask_b32_e32 v7, v11, v7, vcc_lo
	v_cndmask_b32_e32 v6, v10, v6, vcc_lo
	v_div_scale_f64 v[10:11], null, v[6:7], v[6:7], v[8:9]
	v_rcp_f64_e32 v[16:17], v[10:11]
	v_fma_f64 v[18:19], -v[10:11], v[16:17], 1.0
	v_fma_f64 v[16:17], v[16:17], v[18:19], v[16:17]
	v_fma_f64 v[18:19], -v[10:11], v[16:17], 1.0
	v_fma_f64 v[16:17], v[16:17], v[18:19], v[16:17]
	v_div_scale_f64 v[18:19], vcc_lo, v[8:9], v[6:7], v[8:9]
	v_mul_f64 v[20:21], v[18:19], v[16:17]
	v_fma_f64 v[10:11], -v[10:11], v[20:21], v[18:19]
	v_div_fmas_f64 v[10:11], v[10:11], v[16:17], v[20:21]
                                        ; implicit-def: $vgpr16_vgpr17
	v_div_fixup_f64 v[10:11], v[10:11], v[6:7], v[8:9]
                                        ; implicit-def: $vgpr6_vgpr7
                                        ; implicit-def: $vgpr8_vgpr9
.LBB0_65:
	s_andn2_saveexec_b32 s5, s5
	s_cbranch_execz .LBB0_67
; %bb.66:
	v_cmp_gt_f64_e64 s9, 0x10000000, |v[6:7]|
	v_mul_f64 v[16:17], v[16:17], -0.5
	v_cndmask_b32_e64 v10, 0, 0x100, s9
	v_mul_f64 v[8:9], v[8:9], v[16:17]
	v_ldexp_f64 v[6:7], |v[6:7]|, v10
	v_rsq_f64_e32 v[10:11], v[6:7]
	v_cmp_class_f64_e64 vcc_lo, v[6:7], 0x260
	v_mul_f64 v[18:19], v[6:7], v[10:11]
	v_mul_f64 v[10:11], v[10:11], 0.5
	v_fma_f64 v[20:21], -v[10:11], v[18:19], 0.5
	v_fma_f64 v[18:19], v[18:19], v[20:21], v[18:19]
	v_fma_f64 v[10:11], v[10:11], v[20:21], v[10:11]
	v_fma_f64 v[20:21], -v[18:19], v[18:19], v[6:7]
	v_fma_f64 v[18:19], v[20:21], v[10:11], v[18:19]
	v_fma_f64 v[20:21], -v[18:19], v[18:19], v[6:7]
	v_fma_f64 v[10:11], v[20:21], v[10:11], v[18:19]
	v_cndmask_b32_e64 v18, 0, 0xffffff80, s9
	v_ldexp_f64 v[10:11], v[10:11], v18
	v_cndmask_b32_e32 v7, v11, v7, vcc_lo
	v_cndmask_b32_e32 v6, v10, v6, vcc_lo
	v_div_scale_f64 v[10:11], null, v[6:7], v[6:7], v[8:9]
	v_rcp_f64_e32 v[16:17], v[10:11]
	v_fma_f64 v[18:19], -v[10:11], v[16:17], 1.0
	v_fma_f64 v[16:17], v[16:17], v[18:19], v[16:17]
	v_fma_f64 v[18:19], -v[10:11], v[16:17], 1.0
	v_fma_f64 v[16:17], v[16:17], v[18:19], v[16:17]
	v_div_scale_f64 v[18:19], vcc_lo, v[8:9], v[6:7], v[8:9]
	v_mul_f64 v[20:21], v[18:19], v[16:17]
	v_fma_f64 v[10:11], -v[10:11], v[20:21], v[18:19]
	v_div_fmas_f64 v[10:11], v[10:11], v[16:17], v[20:21]
	v_div_fixup_f64 v[10:11], v[10:11], v[6:7], v[8:9]
.LBB0_67:
	s_or_b32 exec_lo, exec_lo, s5
.LBB0_68:
	s_or_b32 exec_lo, exec_lo, s8
	s_or_b32 exec_lo, exec_lo, s7
	s_and_saveexec_b32 s5, s4
	s_xor_b32 s4, exec_lo, s5
	s_cbranch_execz .LBB0_52
.LBB0_69:
	v_mov_b32_e32 v6, 0
	v_mov_b32_e32 v22, v23
	v_lshlrev_b64 v[5:6], 3, v[5:6]
	v_add_co_u32 v5, vcc_lo, v0, v5
	v_add_co_ci_u32_e64 v6, null, v1, v6, vcc_lo
	flat_store_dwordx2 v[5:6], v[2:3]
	s_or_b32 exec_lo, exec_lo, s4
	s_mov_b32 s4, exec_lo
	v_cmpx_lt_i32_e64 v22, v4
	s_cbranch_execz .LBB0_53
.LBB0_70:
	v_add_nc_u32_e32 v2, s6, v22
	v_mov_b32_e32 v3, 0
	v_add_nc_u32_e32 v22, 0x100, v22
	v_lshlrev_b64 v[2:3], 3, v[2:3]
	v_add_co_u32 v2, vcc_lo, v0, v2
	v_add_co_ci_u32_e64 v3, null, v1, v3, vcc_lo
	flat_store_dwordx2 v[2:3], v[14:15]
	s_or_b32 exec_lo, exec_lo, s4
	s_mov_b32 s4, exec_lo
	v_cmpx_lt_i32_e64 v22, v4
	s_cbranch_execz .LBB0_54
.LBB0_71:
	v_add_nc_u32_e32 v2, s6, v22
	v_mov_b32_e32 v3, 0
	v_add_nc_u32_e32 v22, 0x100, v22
	v_lshlrev_b64 v[2:3], 3, v[2:3]
	v_add_co_u32 v2, vcc_lo, v0, v2
	v_add_co_ci_u32_e64 v3, null, v1, v3, vcc_lo
	flat_store_dwordx2 v[2:3], v[12:13]
	s_or_b32 exec_lo, exec_lo, s4
	s_mov_b32 s4, exec_lo
	v_cmpx_lt_i32_e64 v22, v4
	s_cbranch_execz .LBB0_55
.LBB0_72:
	v_add_nc_u32_e32 v2, s6, v22
	v_mov_b32_e32 v3, 0
	v_lshlrev_b64 v[2:3], 3, v[2:3]
	v_add_co_u32 v0, vcc_lo, v0, v2
	v_add_co_ci_u32_e64 v1, null, v1, v3, vcc_lo
	flat_store_dwordx2 v[0:1], v[10:11]
	s_or_b32 exec_lo, exec_lo, s4
	s_waitcnt lgkmcnt(0)
	s_setpc_b64 s[30:31]
.Lfunc_end0:
	.size	_ZN2at6native25elementwise_kernel_helperILb0EZZZNS0_12_GLOBAL__N_130modified_bessel_i1_kernel_cudaERNS_18TensorIteratorBaseEENKUlvE_clEvENKUlvE_clEvEUldE_NS0_6memory8policies11unroll_baseILi256ESt5arrayIPcLm2EE23TrivialOffsetCalculatorILi1EjESF_NS8_15LoadWithoutCastENS8_16StoreWithoutCastELi4ELi1EEEEEvT0_T1_, .Lfunc_end0-_ZN2at6native25elementwise_kernel_helperILb0EZZZNS0_12_GLOBAL__N_130modified_bessel_i1_kernel_cudaERNS_18TensorIteratorBaseEENKUlvE_clEvENKUlvE_clEvEUldE_NS0_6memory8policies11unroll_baseILi256ESt5arrayIPcLm2EE23TrivialOffsetCalculatorILi1EjESF_NS8_15LoadWithoutCastENS8_16StoreWithoutCastELi4ELi1EEEEEvT0_T1_
                                        ; -- End function
	.set .L_ZN2at6native25elementwise_kernel_helperILb0EZZZNS0_12_GLOBAL__N_130modified_bessel_i1_kernel_cudaERNS_18TensorIteratorBaseEENKUlvE_clEvENKUlvE_clEvEUldE_NS0_6memory8policies11unroll_baseILi256ESt5arrayIPcLm2EE23TrivialOffsetCalculatorILi1EjESF_NS8_15LoadWithoutCastENS8_16StoreWithoutCastELi4ELi1EEEEEvT0_T1_.num_vgpr, 32
	.set .L_ZN2at6native25elementwise_kernel_helperILb0EZZZNS0_12_GLOBAL__N_130modified_bessel_i1_kernel_cudaERNS_18TensorIteratorBaseEENKUlvE_clEvENKUlvE_clEvEUldE_NS0_6memory8policies11unroll_baseILi256ESt5arrayIPcLm2EE23TrivialOffsetCalculatorILi1EjESF_NS8_15LoadWithoutCastENS8_16StoreWithoutCastELi4ELi1EEEEEvT0_T1_.num_agpr, 0
	.set .L_ZN2at6native25elementwise_kernel_helperILb0EZZZNS0_12_GLOBAL__N_130modified_bessel_i1_kernel_cudaERNS_18TensorIteratorBaseEENKUlvE_clEvENKUlvE_clEvEUldE_NS0_6memory8policies11unroll_baseILi256ESt5arrayIPcLm2EE23TrivialOffsetCalculatorILi1EjESF_NS8_15LoadWithoutCastENS8_16StoreWithoutCastELi4ELi1EEEEEvT0_T1_.numbered_sgpr, 32
	.set .L_ZN2at6native25elementwise_kernel_helperILb0EZZZNS0_12_GLOBAL__N_130modified_bessel_i1_kernel_cudaERNS_18TensorIteratorBaseEENKUlvE_clEvENKUlvE_clEvEUldE_NS0_6memory8policies11unroll_baseILi256ESt5arrayIPcLm2EE23TrivialOffsetCalculatorILi1EjESF_NS8_15LoadWithoutCastENS8_16StoreWithoutCastELi4ELi1EEEEEvT0_T1_.num_named_barrier, 0
	.set .L_ZN2at6native25elementwise_kernel_helperILb0EZZZNS0_12_GLOBAL__N_130modified_bessel_i1_kernel_cudaERNS_18TensorIteratorBaseEENKUlvE_clEvENKUlvE_clEvEUldE_NS0_6memory8policies11unroll_baseILi256ESt5arrayIPcLm2EE23TrivialOffsetCalculatorILi1EjESF_NS8_15LoadWithoutCastENS8_16StoreWithoutCastELi4ELi1EEEEEvT0_T1_.private_seg_size, 0
	.set .L_ZN2at6native25elementwise_kernel_helperILb0EZZZNS0_12_GLOBAL__N_130modified_bessel_i1_kernel_cudaERNS_18TensorIteratorBaseEENKUlvE_clEvENKUlvE_clEvEUldE_NS0_6memory8policies11unroll_baseILi256ESt5arrayIPcLm2EE23TrivialOffsetCalculatorILi1EjESF_NS8_15LoadWithoutCastENS8_16StoreWithoutCastELi4ELi1EEEEEvT0_T1_.uses_vcc, 1
	.set .L_ZN2at6native25elementwise_kernel_helperILb0EZZZNS0_12_GLOBAL__N_130modified_bessel_i1_kernel_cudaERNS_18TensorIteratorBaseEENKUlvE_clEvENKUlvE_clEvEUldE_NS0_6memory8policies11unroll_baseILi256ESt5arrayIPcLm2EE23TrivialOffsetCalculatorILi1EjESF_NS8_15LoadWithoutCastENS8_16StoreWithoutCastELi4ELi1EEEEEvT0_T1_.uses_flat_scratch, 0
	.set .L_ZN2at6native25elementwise_kernel_helperILb0EZZZNS0_12_GLOBAL__N_130modified_bessel_i1_kernel_cudaERNS_18TensorIteratorBaseEENKUlvE_clEvENKUlvE_clEvEUldE_NS0_6memory8policies11unroll_baseILi256ESt5arrayIPcLm2EE23TrivialOffsetCalculatorILi1EjESF_NS8_15LoadWithoutCastENS8_16StoreWithoutCastELi4ELi1EEEEEvT0_T1_.has_dyn_sized_stack, 0
	.set .L_ZN2at6native25elementwise_kernel_helperILb0EZZZNS0_12_GLOBAL__N_130modified_bessel_i1_kernel_cudaERNS_18TensorIteratorBaseEENKUlvE_clEvENKUlvE_clEvEUldE_NS0_6memory8policies11unroll_baseILi256ESt5arrayIPcLm2EE23TrivialOffsetCalculatorILi1EjESF_NS8_15LoadWithoutCastENS8_16StoreWithoutCastELi4ELi1EEEEEvT0_T1_.has_recursion, 0
	.set .L_ZN2at6native25elementwise_kernel_helperILb0EZZZNS0_12_GLOBAL__N_130modified_bessel_i1_kernel_cudaERNS_18TensorIteratorBaseEENKUlvE_clEvENKUlvE_clEvEUldE_NS0_6memory8policies11unroll_baseILi256ESt5arrayIPcLm2EE23TrivialOffsetCalculatorILi1EjESF_NS8_15LoadWithoutCastENS8_16StoreWithoutCastELi4ELi1EEEEEvT0_T1_.has_indirect_call, 0
	.section	.AMDGPU.csdata,"",@progbits
; Function info:
; codeLenInByte = 13644
; TotalNumSgprs: 34
; NumVgprs: 32
; ScratchSize: 0
; MemoryBound: 0
	.text
	.p2align	2                               ; -- Begin function _ZN2at6native25elementwise_kernel_helperILb0EZZZNS0_12_GLOBAL__N_130modified_bessel_i1_kernel_cudaERNS_18TensorIteratorBaseEENKUlvE_clEvENKUlvE_clEvEUldE_NS0_6memory8policies10vectorizedILi4ESt5arrayIPcLm2EELi4EEEEEvT0_T1_
	.type	_ZN2at6native25elementwise_kernel_helperILb0EZZZNS0_12_GLOBAL__N_130modified_bessel_i1_kernel_cudaERNS_18TensorIteratorBaseEENKUlvE_clEvENKUlvE_clEvEUldE_NS0_6memory8policies10vectorizedILi4ESt5arrayIPcLm2EELi4EEEEEvT0_T1_,@function
_ZN2at6native25elementwise_kernel_helperILb0EZZZNS0_12_GLOBAL__N_130modified_bessel_i1_kernel_cudaERNS_18TensorIteratorBaseEENKUlvE_clEvENKUlvE_clEvEUldE_NS0_6memory8policies10vectorizedILi4ESt5arrayIPcLm2EELi4EEEEEvT0_T1_: ; @_ZN2at6native25elementwise_kernel_helperILb0EZZZNS0_12_GLOBAL__N_130modified_bessel_i1_kernel_cudaERNS_18TensorIteratorBaseEENKUlvE_clEvENKUlvE_clEvEUldE_NS0_6memory8policies10vectorizedILi4ESt5arrayIPcLm2EELi4EEEEEvT0_T1_
; %bb.0:
	s_waitcnt vmcnt(0) expcnt(0) lgkmcnt(0)
	s_lshl_b32 s4, s12, 10
	v_and_b32_e32 v4, 0x3ff, v31
	s_ashr_i32 s5, s4, 31
                                        ; implicit-def: $vgpr6_vgpr7
	s_lshl_b64 s[6:7], s[4:5], 3
	v_lshlrev_b32_e32 v16, 5, v4
	v_add_co_u32 v2, vcc_lo, v2, s6
	v_add_co_ci_u32_e64 v3, null, s7, v3, vcc_lo
	v_add_co_u32 v2, vcc_lo, v2, v16
	v_add_co_ci_u32_e64 v3, null, 0, v3, vcc_lo
	s_clause 0x1
	flat_load_dwordx4 v[8:11], v[2:3]
	flat_load_dwordx4 v[2:5], v[2:3] offset:16
	s_waitcnt vmcnt(1) lgkmcnt(1)
	v_cmp_ge_f64_e64 s4, 0x40200000, |v[8:9]|
	s_and_saveexec_b32 s5, s4
	s_xor_b32 s4, exec_lo, s5
	s_cbranch_execz .LBB1_6
; %bb.1:
	v_fma_f64 v[6:7], |v[8:9]|, 0.5, -2.0
	s_mov_b32 s8, 0xc38a0576
	s_mov_b32 s9, 0xbc7857d0
	;; [unrolled: 1-line block ×4, first 2 shown]
	s_mov_b32 s5, exec_lo
	v_fma_f64 v[12:13], v[6:7], s[10:11], s[8:9]
	s_mov_b32 s11, 0xbc499f2a
	s_mov_b32 s8, 0xe593bfac
	;; [unrolled: 1-line block ×3, first 2 shown]
	v_fma_f64 v[14:15], v[6:7], v[12:13], s[10:11]
	s_mov_b32 s10, 0x3b39803f
	s_mov_b32 s11, 0xbc7abc9e
	v_add_f64 v[14:15], v[14:15], s[8:9]
	s_mov_b32 s8, 0x7e0d1573
	s_mov_b32 s9, 0xbcd3eaaa
	v_fma_f64 v[12:13], v[6:7], v[14:15], -v[12:13]
	v_add_f64 v[12:13], v[12:13], s[8:9]
	s_mov_b32 s8, 0x615290c
	s_mov_b32 s9, 0x3d011d7f
	v_fma_f64 v[14:15], v[6:7], v[12:13], -v[14:15]
	;; [unrolled: 4-line block ×20, first 2 shown]
	v_add_f64 v[14:15], v[14:15], s[8:9]
	s_mov_b32 s8, 0x652b82fe
	s_mov_b32 s9, 0x3ff71547
	v_mul_f64 v[17:18], |v[8:9]|, s[8:9]
	s_mov_b32 s8, 0x7913a26a
	s_mov_b32 s9, 0xbf85a29f
	v_fma_f64 v[12:13], v[6:7], v[14:15], -v[12:13]
	v_rndne_f64_e32 v[17:18], v[17:18]
	v_add_f64 v[12:13], v[12:13], s[8:9]
	s_mov_b32 s8, 0xfefa39ef
	s_mov_b32 s9, 0xbfe62e42
	v_fma_f64 v[19:20], v[17:18], s[8:9], |v[8:9]|
	s_mov_b32 s8, 0xe7bb2349
	s_mov_b32 s9, 0x3f9951e3
	v_fma_f64 v[14:15], v[6:7], v[12:13], -v[14:15]
	v_fma_f64 v[19:20], v[17:18], s[10:11], v[19:20]
	s_mov_b32 s10, 0x6a5dcb37
	s_mov_b32 s11, 0x3e5ade15
	v_cvt_i32_f64_e32 v17, v[17:18]
	v_add_f64 v[14:15], v[14:15], s[8:9]
	s_mov_b32 s8, 0xfca7ab0c
	s_mov_b32 s9, 0x3e928af3
	v_fma_f64 v[21:22], v[19:20], s[10:11], s[8:9]
	s_mov_b32 s8, 0x537c9ebc
	s_mov_b32 s10, 0x623fde64
	;; [unrolled: 1-line block ×4, first 2 shown]
	v_fma_f64 v[12:13], v[6:7], v[14:15], -v[12:13]
	v_fma_f64 v[21:22], v[19:20], v[21:22], s[10:11]
	s_mov_b32 s10, 0x14761f6e
	s_mov_b32 s11, 0x3f2a01a0
	v_add_f64 v[12:13], v[12:13], s[8:9]
	s_mov_b32 s8, 0x7c89e6b0
	s_mov_b32 s9, 0x3efa0199
	v_fma_f64 v[21:22], v[19:20], v[21:22], s[8:9]
	s_mov_b32 s8, 0xd536f53c
	s_mov_b32 s9, 0x3fba46da
	v_fma_f64 v[14:15], v[6:7], v[12:13], -v[14:15]
	v_fma_f64 v[21:22], v[19:20], v[21:22], s[10:11]
	s_mov_b32 s10, 0x11122322
	s_mov_b32 s11, 0x3f811111
	v_add_f64 v[14:15], v[14:15], s[8:9]
	s_mov_b32 s8, 0x1852b7b0
	s_mov_b32 s9, 0x3f56c16c
	v_fma_f64 v[21:22], v[19:20], v[21:22], s[8:9]
	s_mov_b32 s8, 0x469192e
	s_mov_b32 s9, 0xbfc694d1
	v_fma_f64 v[12:13], v[6:7], v[14:15], -v[12:13]
	v_fma_f64 v[21:22], v[19:20], v[21:22], s[10:11]
	s_mov_b32 s10, 0x55555511
	s_mov_b32 s11, 0x3fc55555
	v_add_f64 v[12:13], v[12:13], s[8:9]
	s_mov_b32 s8, 0x555502a1
	s_mov_b32 s9, 0x3fa55555
	v_fma_f64 v[21:22], v[19:20], v[21:22], s[8:9]
	s_mov_b32 s8, 0x724a7ffa
	s_mov_b32 s9, 0x3fd02a63
	v_fma_f64 v[6:7], v[6:7], v[12:13], -v[14:15]
	v_fma_f64 v[12:13], v[19:20], v[21:22], s[10:11]
	v_add_f64 v[6:7], v[6:7], s[8:9]
	s_mov_b32 s8, 11
	s_mov_b32 s9, 0x3fe00000
	v_fma_f64 v[12:13], v[19:20], v[12:13], s[8:9]
	v_add_f64 v[6:7], v[6:7], -v[14:15]
	v_fma_f64 v[12:13], v[19:20], v[12:13], 1.0
	v_mul_f64 v[6:7], v[6:7], 0.5
	v_fma_f64 v[14:15], v[19:20], v[12:13], 1.0
	v_mul_f64 v[12:13], |v[8:9]|, v[6:7]
                                        ; implicit-def: $vgpr6_vgpr7
	v_cmpx_ngt_f64_e32 0, v[8:9]
	s_xor_b32 s5, exec_lo, s5
	s_cbranch_execz .LBB1_3
; %bb.2:
	v_ldexp_f64 v[6:7], v[14:15], v17
	v_cmp_nlt_f64_e64 vcc_lo, 0x40900000, |v[8:9]|
                                        ; implicit-def: $vgpr14_vgpr15
                                        ; implicit-def: $vgpr17
	v_cndmask_b32_e32 v7, 0x7ff00000, v7, vcc_lo
	v_cndmask_b32_e32 v6, 0, v6, vcc_lo
	v_mul_f64 v[6:7], v[6:7], v[12:13]
                                        ; implicit-def: $vgpr12_vgpr13
.LBB1_3:
	s_andn2_saveexec_b32 s5, s5
	s_cbranch_execz .LBB1_5
; %bb.4:
	v_ldexp_f64 v[6:7], -v[14:15], v17
	v_cmp_nlt_f64_e64 vcc_lo, 0x40900000, |v[8:9]|
	v_cndmask_b32_e32 v7, 0xfff00000, v7, vcc_lo
	v_cndmask_b32_e32 v6, 0, v6, vcc_lo
	v_mul_f64 v[6:7], v[6:7], v[12:13]
.LBB1_5:
	s_or_b32 exec_lo, exec_lo, s5
.LBB1_6:
	s_andn2_saveexec_b32 s5, s4
	s_cbranch_execz .LBB1_12
; %bb.7:
	v_and_b32_e32 v7, 0x7fffffff, v9
	v_mov_b32_e32 v6, v8
	s_mov_b32 s8, 0xea87b950
	s_mov_b32 s9, 0x3c545b8a
	;; [unrolled: 1-line block ×4, first 2 shown]
	v_div_scale_f64 v[12:13], null, v[6:7], v[6:7], 0x40400000
	v_div_scale_f64 v[6:7], vcc_lo, 0x40400000, v[6:7], 0x40400000
	v_cmp_ngt_f64_e64 s4, 0, v[8:9]
	v_rcp_f64_e32 v[14:15], v[12:13]
	v_fma_f64 v[17:18], -v[12:13], v[14:15], 1.0
	v_fma_f64 v[14:15], v[14:15], v[17:18], v[14:15]
	v_fma_f64 v[17:18], -v[12:13], v[14:15], 1.0
	v_fma_f64 v[14:15], v[14:15], v[17:18], v[14:15]
	v_mul_f64 v[17:18], v[6:7], v[14:15]
	v_fma_f64 v[6:7], -v[12:13], v[17:18], v[6:7]
	v_div_fmas_f64 v[6:7], v[6:7], v[14:15], v[17:18]
	v_cmp_nlt_f64_e64 vcc_lo, 0x40900000, |v[8:9]|
	v_div_fixup_f64 v[6:7], v[6:7], |v[8:9]|, 0x40400000
	v_add_f64 v[6:7], v[6:7], -2.0
	v_fma_f64 v[12:13], v[6:7], s[10:11], s[8:9]
	s_mov_b32 s11, 0xbc61556d
	s_mov_b32 s8, 0xb2532277
	;; [unrolled: 1-line block ×3, first 2 shown]
	v_fma_f64 v[14:15], v[6:7], v[12:13], s[10:11]
	s_mov_b32 s10, 0x6a5dcb37
	s_mov_b32 s11, 0x3e5ade15
	v_add_f64 v[14:15], v[14:15], s[8:9]
	s_mov_b32 s8, 0x9c773320
	s_mov_b32 s9, 0xbc82806c
	v_fma_f64 v[12:13], v[6:7], v[14:15], -v[12:13]
	v_add_f64 v[12:13], v[12:13], s[8:9]
	s_mov_b32 s8, 0xfceb588a
	s_mov_b32 s9, 0x3cb55915
	v_fma_f64 v[14:15], v[6:7], v[12:13], -v[14:15]
	;; [unrolled: 4-line block ×14, first 2 shown]
	v_add_f64 v[14:15], v[14:15], s[8:9]
	s_mov_b32 s8, 0x652b82fe
	s_mov_b32 s9, 0x3ff71547
	v_mul_f64 v[17:18], |v[8:9]|, s[8:9]
	s_mov_b32 s8, 0x5423dd80
	s_mov_b32 s9, 0xbe0334ca
	v_fma_f64 v[12:13], v[6:7], v[14:15], -v[12:13]
	v_rndne_f64_e32 v[17:18], v[17:18]
	v_add_f64 v[12:13], v[12:13], s[8:9]
	s_mov_b32 s8, 0xfefa39ef
	s_mov_b32 s9, 0xbfe62e42
	v_fma_f64 v[19:20], v[17:18], s[8:9], |v[8:9]|
	s_mov_b32 s8, 0x9ad53528
	s_mov_b32 s9, 0xbe30790b
	v_fma_f64 v[14:15], v[6:7], v[12:13], -v[14:15]
	v_add_f64 v[14:15], v[14:15], s[8:9]
	s_mov_b32 s8, 0x3b39803f
	s_mov_b32 s9, 0xbc7abc9e
	v_fma_f64 v[19:20], v[17:18], s[8:9], v[19:20]
	s_mov_b32 s8, 0xfca7ab0c
	s_mov_b32 s9, 0x3e928af3
	v_cvt_i32_f64_e32 v17, v[17:18]
	v_fma_f64 v[12:13], v[6:7], v[14:15], -v[12:13]
	v_fma_f64 v[21:22], v[19:20], s[10:11], s[8:9]
	s_mov_b32 s8, 0x94bb46c1
	s_mov_b32 s9, 0xbe5c4153
	v_add_f64 v[12:13], v[12:13], s[8:9]
	s_mov_b32 s8, 0x623fde64
	s_mov_b32 s9, 0x3ec71dee
	v_fma_f64 v[21:22], v[19:20], v[21:22], s[8:9]
	s_mov_b32 s8, 0x7c89e6b0
	s_mov_b32 s9, 0x3efa0199
	v_fma_f64 v[14:15], v[6:7], v[12:13], -v[14:15]
	v_fma_f64 v[21:22], v[19:20], v[21:22], s[8:9]
	s_mov_b32 s8, 0x2e9e5443
	s_mov_b32 s9, 0xbe90dbfd
	v_add_f64 v[14:15], v[14:15], s[8:9]
	s_mov_b32 s8, 0x14761f6e
	s_mov_b32 s9, 0x3f2a01a0
	v_fma_f64 v[21:22], v[19:20], v[21:22], s[8:9]
	s_mov_b32 s8, 0x1852b7b0
	s_mov_b32 s9, 0x3f56c16c
	;; [unrolled: 10-line block ×4, first 2 shown]
	v_fma_f64 v[12:13], v[6:7], v[14:15], -v[12:13]
	v_fma_f64 v[21:22], v[19:20], v[21:22], s[8:9]
	s_mov_b32 s8, 0x53fcdb4c
	s_mov_b32 s9, 0xbf83fda0
	v_add_f64 v[12:13], v[12:13], s[8:9]
	s_mov_b32 s8, 0xb55b1514
	s_mov_b32 s9, 0x3fe8ea18
	v_fma_f64 v[21:22], v[19:20], v[21:22], 1.0
	v_fma_f64 v[6:7], v[6:7], v[12:13], -v[14:15]
	v_fma_f64 v[12:13], v[19:20], v[21:22], 1.0
	v_add_f64 v[6:7], v[6:7], s[8:9]
	v_ldexp_f64 v[12:13], v[12:13], v17
	v_add_f64 v[14:15], v[6:7], -v[14:15]
                                        ; implicit-def: $vgpr6_vgpr7
	v_cndmask_b32_e32 v13, 0x7ff00000, v13, vcc_lo
	v_cndmask_b32_e32 v12, 0, v12, vcc_lo
	s_and_saveexec_b32 s8, s4
	s_xor_b32 s4, exec_lo, s8
	s_cbranch_execz .LBB1_9
; %bb.8:
	v_cmp_gt_f64_e64 s8, 0x10000000, |v[8:9]|
	v_mul_f64 v[14:15], v[14:15], 0.5
	v_cndmask_b32_e64 v6, 0, 0x100, s8
	v_mul_f64 v[12:13], v[12:13], v[14:15]
	v_ldexp_f64 v[6:7], |v[8:9]|, v6
	v_rsq_f64_e32 v[8:9], v[6:7]
	v_cmp_class_f64_e64 vcc_lo, v[6:7], 0x260
	v_mul_f64 v[17:18], v[6:7], v[8:9]
	v_mul_f64 v[8:9], v[8:9], 0.5
	v_fma_f64 v[19:20], -v[8:9], v[17:18], 0.5
	v_fma_f64 v[17:18], v[17:18], v[19:20], v[17:18]
	v_fma_f64 v[8:9], v[8:9], v[19:20], v[8:9]
	v_fma_f64 v[19:20], -v[17:18], v[17:18], v[6:7]
	v_fma_f64 v[17:18], v[19:20], v[8:9], v[17:18]
	v_fma_f64 v[19:20], -v[17:18], v[17:18], v[6:7]
	v_fma_f64 v[8:9], v[19:20], v[8:9], v[17:18]
	v_cndmask_b32_e64 v17, 0, 0xffffff80, s8
	v_ldexp_f64 v[8:9], v[8:9], v17
	v_cndmask_b32_e32 v7, v9, v7, vcc_lo
	v_cndmask_b32_e32 v6, v8, v6, vcc_lo
	v_div_scale_f64 v[8:9], null, v[6:7], v[6:7], v[12:13]
	v_rcp_f64_e32 v[14:15], v[8:9]
	v_fma_f64 v[17:18], -v[8:9], v[14:15], 1.0
	v_fma_f64 v[14:15], v[14:15], v[17:18], v[14:15]
	v_fma_f64 v[17:18], -v[8:9], v[14:15], 1.0
	v_fma_f64 v[14:15], v[14:15], v[17:18], v[14:15]
	v_div_scale_f64 v[17:18], vcc_lo, v[12:13], v[6:7], v[12:13]
	v_mul_f64 v[19:20], v[17:18], v[14:15]
	v_fma_f64 v[8:9], -v[8:9], v[19:20], v[17:18]
	v_div_fmas_f64 v[8:9], v[8:9], v[14:15], v[19:20]
                                        ; implicit-def: $vgpr14_vgpr15
	v_div_fixup_f64 v[6:7], v[8:9], v[6:7], v[12:13]
                                        ; implicit-def: $vgpr12_vgpr13
.LBB1_9:
	s_andn2_saveexec_b32 s4, s4
	s_cbranch_execz .LBB1_11
; %bb.10:
	v_cmp_gt_f64_e64 s8, 0x10000000, |v[8:9]|
	v_mul_f64 v[14:15], v[14:15], -0.5
	v_cndmask_b32_e64 v6, 0, 0x100, s8
	v_mul_f64 v[12:13], v[12:13], v[14:15]
	v_ldexp_f64 v[6:7], |v[8:9]|, v6
	v_rsq_f64_e32 v[8:9], v[6:7]
	v_cmp_class_f64_e64 vcc_lo, v[6:7], 0x260
	v_mul_f64 v[17:18], v[6:7], v[8:9]
	v_mul_f64 v[8:9], v[8:9], 0.5
	v_fma_f64 v[19:20], -v[8:9], v[17:18], 0.5
	v_fma_f64 v[17:18], v[17:18], v[19:20], v[17:18]
	v_fma_f64 v[8:9], v[8:9], v[19:20], v[8:9]
	v_fma_f64 v[19:20], -v[17:18], v[17:18], v[6:7]
	v_fma_f64 v[17:18], v[19:20], v[8:9], v[17:18]
	v_fma_f64 v[19:20], -v[17:18], v[17:18], v[6:7]
	v_fma_f64 v[8:9], v[19:20], v[8:9], v[17:18]
	v_cndmask_b32_e64 v17, 0, 0xffffff80, s8
	v_ldexp_f64 v[8:9], v[8:9], v17
	v_cndmask_b32_e32 v7, v9, v7, vcc_lo
	v_cndmask_b32_e32 v6, v8, v6, vcc_lo
	v_div_scale_f64 v[8:9], null, v[6:7], v[6:7], v[12:13]
	v_rcp_f64_e32 v[14:15], v[8:9]
	v_fma_f64 v[17:18], -v[8:9], v[14:15], 1.0
	v_fma_f64 v[14:15], v[14:15], v[17:18], v[14:15]
	v_fma_f64 v[17:18], -v[8:9], v[14:15], 1.0
	v_fma_f64 v[14:15], v[14:15], v[17:18], v[14:15]
	v_div_scale_f64 v[17:18], vcc_lo, v[12:13], v[6:7], v[12:13]
	v_mul_f64 v[19:20], v[17:18], v[14:15]
	v_fma_f64 v[8:9], -v[8:9], v[19:20], v[17:18]
	v_div_fmas_f64 v[8:9], v[8:9], v[14:15], v[19:20]
	v_div_fixup_f64 v[6:7], v[8:9], v[6:7], v[12:13]
.LBB1_11:
	s_or_b32 exec_lo, exec_lo, s4
.LBB1_12:
	s_or_b32 exec_lo, exec_lo, s5
	v_cmp_ge_f64_e64 s4, 0x40200000, |v[10:11]|
	s_and_saveexec_b32 s5, s4
	s_xor_b32 s4, exec_lo, s5
	s_cbranch_execz .LBB1_18
; %bb.13:
	v_fma_f64 v[8:9], |v[10:11]|, 0.5, -2.0
	s_mov_b32 s8, 0xc38a0576
	s_mov_b32 s9, 0xbc7857d0
	s_mov_b32 s11, 0x3c499f2a
	s_mov_b32 s10, 0xc3c4014
	s_mov_b32 s5, exec_lo
	v_fma_f64 v[12:13], v[8:9], s[10:11], s[8:9]
	s_mov_b32 s11, 0xbc499f2a
	s_mov_b32 s8, 0xe593bfac
	;; [unrolled: 1-line block ×3, first 2 shown]
	v_fma_f64 v[14:15], v[8:9], v[12:13], s[10:11]
	s_mov_b32 s10, 0x3b39803f
	s_mov_b32 s11, 0xbc7abc9e
	v_add_f64 v[14:15], v[14:15], s[8:9]
	s_mov_b32 s8, 0x7e0d1573
	s_mov_b32 s9, 0xbcd3eaaa
	v_fma_f64 v[12:13], v[8:9], v[14:15], -v[12:13]
	v_add_f64 v[12:13], v[12:13], s[8:9]
	s_mov_b32 s8, 0x615290c
	s_mov_b32 s9, 0x3d011d7f
	v_fma_f64 v[14:15], v[8:9], v[12:13], -v[14:15]
	;; [unrolled: 4-line block ×20, first 2 shown]
	v_add_f64 v[14:15], v[14:15], s[8:9]
	s_mov_b32 s8, 0x652b82fe
	s_mov_b32 s9, 0x3ff71547
	v_mul_f64 v[17:18], |v[10:11]|, s[8:9]
	s_mov_b32 s8, 0x7913a26a
	s_mov_b32 s9, 0xbf85a29f
	v_fma_f64 v[12:13], v[8:9], v[14:15], -v[12:13]
	v_rndne_f64_e32 v[17:18], v[17:18]
	v_add_f64 v[12:13], v[12:13], s[8:9]
	s_mov_b32 s8, 0xfefa39ef
	s_mov_b32 s9, 0xbfe62e42
	v_fma_f64 v[19:20], v[17:18], s[8:9], |v[10:11]|
	s_mov_b32 s8, 0xe7bb2349
	s_mov_b32 s9, 0x3f9951e3
	v_fma_f64 v[14:15], v[8:9], v[12:13], -v[14:15]
	v_fma_f64 v[19:20], v[17:18], s[10:11], v[19:20]
	s_mov_b32 s10, 0x6a5dcb37
	s_mov_b32 s11, 0x3e5ade15
	v_cvt_i32_f64_e32 v17, v[17:18]
	v_add_f64 v[14:15], v[14:15], s[8:9]
	s_mov_b32 s8, 0xfca7ab0c
	s_mov_b32 s9, 0x3e928af3
	v_fma_f64 v[21:22], v[19:20], s[10:11], s[8:9]
	s_mov_b32 s8, 0x537c9ebc
	s_mov_b32 s10, 0x623fde64
	;; [unrolled: 1-line block ×4, first 2 shown]
	v_fma_f64 v[12:13], v[8:9], v[14:15], -v[12:13]
	v_fma_f64 v[21:22], v[19:20], v[21:22], s[10:11]
	s_mov_b32 s10, 0x14761f6e
	s_mov_b32 s11, 0x3f2a01a0
	v_add_f64 v[12:13], v[12:13], s[8:9]
	s_mov_b32 s8, 0x7c89e6b0
	s_mov_b32 s9, 0x3efa0199
	v_fma_f64 v[21:22], v[19:20], v[21:22], s[8:9]
	s_mov_b32 s8, 0xd536f53c
	s_mov_b32 s9, 0x3fba46da
	v_fma_f64 v[14:15], v[8:9], v[12:13], -v[14:15]
	v_fma_f64 v[21:22], v[19:20], v[21:22], s[10:11]
	s_mov_b32 s10, 0x11122322
	s_mov_b32 s11, 0x3f811111
	v_add_f64 v[14:15], v[14:15], s[8:9]
	s_mov_b32 s8, 0x1852b7b0
	s_mov_b32 s9, 0x3f56c16c
	v_fma_f64 v[21:22], v[19:20], v[21:22], s[8:9]
	s_mov_b32 s8, 0x469192e
	s_mov_b32 s9, 0xbfc694d1
	;; [unrolled: 10-line block ×3, first 2 shown]
	v_fma_f64 v[8:9], v[8:9], v[12:13], -v[14:15]
	v_fma_f64 v[12:13], v[19:20], v[21:22], s[10:11]
	v_add_f64 v[8:9], v[8:9], s[8:9]
	s_mov_b32 s8, 11
	s_mov_b32 s9, 0x3fe00000
	v_fma_f64 v[12:13], v[19:20], v[12:13], s[8:9]
	v_add_f64 v[8:9], v[8:9], -v[14:15]
	v_fma_f64 v[12:13], v[19:20], v[12:13], 1.0
	v_mul_f64 v[8:9], v[8:9], 0.5
	v_fma_f64 v[14:15], v[19:20], v[12:13], 1.0
	v_mul_f64 v[12:13], |v[10:11]|, v[8:9]
	v_cmpx_ngt_f64_e32 0, v[10:11]
	s_xor_b32 s5, exec_lo, s5
	s_cbranch_execz .LBB1_15
; %bb.14:
	v_ldexp_f64 v[8:9], v[14:15], v17
	v_cmp_nlt_f64_e64 vcc_lo, 0x40900000, |v[10:11]|
                                        ; implicit-def: $vgpr14_vgpr15
                                        ; implicit-def: $vgpr17
                                        ; implicit-def: $vgpr10_vgpr11
	v_cndmask_b32_e32 v9, 0x7ff00000, v9, vcc_lo
	v_cndmask_b32_e32 v8, 0, v8, vcc_lo
	v_mul_f64 v[8:9], v[8:9], v[12:13]
                                        ; implicit-def: $vgpr12_vgpr13
.LBB1_15:
	s_andn2_saveexec_b32 s5, s5
	s_cbranch_execz .LBB1_17
; %bb.16:
	v_ldexp_f64 v[8:9], -v[14:15], v17
	v_cmp_nlt_f64_e64 vcc_lo, 0x40900000, |v[10:11]|
	v_cndmask_b32_e32 v9, 0xfff00000, v9, vcc_lo
	v_cndmask_b32_e32 v8, 0, v8, vcc_lo
	v_mul_f64 v[8:9], v[8:9], v[12:13]
.LBB1_17:
	s_or_b32 exec_lo, exec_lo, s5
                                        ; implicit-def: $vgpr10_vgpr11
.LBB1_18:
	s_andn2_saveexec_b32 s5, s4
	s_cbranch_execz .LBB1_24
; %bb.19:
	v_and_b32_e32 v9, 0x7fffffff, v11
	v_mov_b32_e32 v8, v10
	s_mov_b32 s8, 0xea87b950
	s_mov_b32 s9, 0x3c545b8a
	;; [unrolled: 1-line block ×4, first 2 shown]
	v_div_scale_f64 v[12:13], null, v[8:9], v[8:9], 0x40400000
	v_div_scale_f64 v[8:9], vcc_lo, 0x40400000, v[8:9], 0x40400000
	v_cmp_ngt_f64_e64 s4, 0, v[10:11]
	v_rcp_f64_e32 v[14:15], v[12:13]
	v_fma_f64 v[17:18], -v[12:13], v[14:15], 1.0
	v_fma_f64 v[14:15], v[14:15], v[17:18], v[14:15]
	v_fma_f64 v[17:18], -v[12:13], v[14:15], 1.0
	v_fma_f64 v[14:15], v[14:15], v[17:18], v[14:15]
	v_mul_f64 v[17:18], v[8:9], v[14:15]
	v_fma_f64 v[8:9], -v[12:13], v[17:18], v[8:9]
	v_div_fmas_f64 v[8:9], v[8:9], v[14:15], v[17:18]
	v_cmp_nlt_f64_e64 vcc_lo, 0x40900000, |v[10:11]|
	v_div_fixup_f64 v[8:9], v[8:9], |v[10:11]|, 0x40400000
	v_add_f64 v[8:9], v[8:9], -2.0
	v_fma_f64 v[12:13], v[8:9], s[10:11], s[8:9]
	s_mov_b32 s11, 0xbc61556d
	s_mov_b32 s8, 0xb2532277
	;; [unrolled: 1-line block ×3, first 2 shown]
	v_fma_f64 v[14:15], v[8:9], v[12:13], s[10:11]
	s_mov_b32 s10, 0x6a5dcb37
	s_mov_b32 s11, 0x3e5ade15
	v_add_f64 v[14:15], v[14:15], s[8:9]
	s_mov_b32 s8, 0x9c773320
	s_mov_b32 s9, 0xbc82806c
	v_fma_f64 v[12:13], v[8:9], v[14:15], -v[12:13]
	v_add_f64 v[12:13], v[12:13], s[8:9]
	s_mov_b32 s8, 0xfceb588a
	s_mov_b32 s9, 0x3cb55915
	v_fma_f64 v[14:15], v[8:9], v[12:13], -v[14:15]
	;; [unrolled: 4-line block ×14, first 2 shown]
	v_add_f64 v[14:15], v[14:15], s[8:9]
	s_mov_b32 s8, 0x652b82fe
	s_mov_b32 s9, 0x3ff71547
	v_mul_f64 v[17:18], |v[10:11]|, s[8:9]
	s_mov_b32 s8, 0x5423dd80
	s_mov_b32 s9, 0xbe0334ca
	v_fma_f64 v[12:13], v[8:9], v[14:15], -v[12:13]
	v_rndne_f64_e32 v[17:18], v[17:18]
	v_add_f64 v[12:13], v[12:13], s[8:9]
	s_mov_b32 s8, 0xfefa39ef
	s_mov_b32 s9, 0xbfe62e42
	v_fma_f64 v[19:20], v[17:18], s[8:9], |v[10:11]|
	s_mov_b32 s8, 0x9ad53528
	s_mov_b32 s9, 0xbe30790b
	v_fma_f64 v[14:15], v[8:9], v[12:13], -v[14:15]
	v_add_f64 v[14:15], v[14:15], s[8:9]
	s_mov_b32 s8, 0x3b39803f
	s_mov_b32 s9, 0xbc7abc9e
	v_fma_f64 v[19:20], v[17:18], s[8:9], v[19:20]
	s_mov_b32 s8, 0xfca7ab0c
	s_mov_b32 s9, 0x3e928af3
	v_cvt_i32_f64_e32 v17, v[17:18]
	v_fma_f64 v[12:13], v[8:9], v[14:15], -v[12:13]
	v_fma_f64 v[21:22], v[19:20], s[10:11], s[8:9]
	s_mov_b32 s8, 0x94bb46c1
	s_mov_b32 s9, 0xbe5c4153
	v_add_f64 v[12:13], v[12:13], s[8:9]
	s_mov_b32 s8, 0x623fde64
	s_mov_b32 s9, 0x3ec71dee
	v_fma_f64 v[21:22], v[19:20], v[21:22], s[8:9]
	s_mov_b32 s8, 0x7c89e6b0
	s_mov_b32 s9, 0x3efa0199
	v_fma_f64 v[14:15], v[8:9], v[12:13], -v[14:15]
	v_fma_f64 v[21:22], v[19:20], v[21:22], s[8:9]
	s_mov_b32 s8, 0x2e9e5443
	s_mov_b32 s9, 0xbe90dbfd
	v_add_f64 v[14:15], v[14:15], s[8:9]
	s_mov_b32 s8, 0x14761f6e
	s_mov_b32 s9, 0x3f2a01a0
	v_fma_f64 v[21:22], v[19:20], v[21:22], s[8:9]
	s_mov_b32 s8, 0x1852b7b0
	s_mov_b32 s9, 0x3f56c16c
	;; [unrolled: 10-line block ×4, first 2 shown]
	v_fma_f64 v[12:13], v[8:9], v[14:15], -v[12:13]
	v_fma_f64 v[21:22], v[19:20], v[21:22], s[8:9]
	s_mov_b32 s8, 0x53fcdb4c
	s_mov_b32 s9, 0xbf83fda0
	v_add_f64 v[12:13], v[12:13], s[8:9]
	s_mov_b32 s8, 0xb55b1514
	s_mov_b32 s9, 0x3fe8ea18
	v_fma_f64 v[21:22], v[19:20], v[21:22], 1.0
	v_fma_f64 v[8:9], v[8:9], v[12:13], -v[14:15]
	v_fma_f64 v[12:13], v[19:20], v[21:22], 1.0
	v_add_f64 v[8:9], v[8:9], s[8:9]
	v_ldexp_f64 v[12:13], v[12:13], v17
	v_add_f64 v[14:15], v[8:9], -v[14:15]
	v_cndmask_b32_e32 v13, 0x7ff00000, v13, vcc_lo
	v_cndmask_b32_e32 v12, 0, v12, vcc_lo
	s_and_saveexec_b32 s8, s4
	s_xor_b32 s4, exec_lo, s8
	s_cbranch_execz .LBB1_21
; %bb.20:
	v_cmp_gt_f64_e64 s8, 0x10000000, |v[10:11]|
	v_mul_f64 v[14:15], v[14:15], 0.5
	v_cndmask_b32_e64 v8, 0, 0x100, s8
	v_mul_f64 v[12:13], v[12:13], v[14:15]
	v_ldexp_f64 v[8:9], |v[10:11]|, v8
	v_rsq_f64_e32 v[10:11], v[8:9]
	v_cmp_class_f64_e64 vcc_lo, v[8:9], 0x260
	v_mul_f64 v[17:18], v[8:9], v[10:11]
	v_mul_f64 v[10:11], v[10:11], 0.5
	v_fma_f64 v[19:20], -v[10:11], v[17:18], 0.5
	v_fma_f64 v[17:18], v[17:18], v[19:20], v[17:18]
	v_fma_f64 v[10:11], v[10:11], v[19:20], v[10:11]
	v_fma_f64 v[19:20], -v[17:18], v[17:18], v[8:9]
	v_fma_f64 v[17:18], v[19:20], v[10:11], v[17:18]
	v_fma_f64 v[19:20], -v[17:18], v[17:18], v[8:9]
	v_fma_f64 v[10:11], v[19:20], v[10:11], v[17:18]
	v_cndmask_b32_e64 v17, 0, 0xffffff80, s8
	v_ldexp_f64 v[10:11], v[10:11], v17
	v_cndmask_b32_e32 v9, v11, v9, vcc_lo
	v_cndmask_b32_e32 v8, v10, v8, vcc_lo
	v_div_scale_f64 v[10:11], null, v[8:9], v[8:9], v[12:13]
	v_rcp_f64_e32 v[14:15], v[10:11]
	v_fma_f64 v[17:18], -v[10:11], v[14:15], 1.0
	v_fma_f64 v[14:15], v[14:15], v[17:18], v[14:15]
	v_fma_f64 v[17:18], -v[10:11], v[14:15], 1.0
	v_fma_f64 v[14:15], v[14:15], v[17:18], v[14:15]
	v_div_scale_f64 v[17:18], vcc_lo, v[12:13], v[8:9], v[12:13]
	v_mul_f64 v[19:20], v[17:18], v[14:15]
	v_fma_f64 v[10:11], -v[10:11], v[19:20], v[17:18]
	v_div_fmas_f64 v[10:11], v[10:11], v[14:15], v[19:20]
                                        ; implicit-def: $vgpr14_vgpr15
	v_div_fixup_f64 v[8:9], v[10:11], v[8:9], v[12:13]
                                        ; implicit-def: $vgpr10_vgpr11
                                        ; implicit-def: $vgpr12_vgpr13
.LBB1_21:
	s_andn2_saveexec_b32 s4, s4
	s_cbranch_execz .LBB1_23
; %bb.22:
	v_cmp_gt_f64_e64 s8, 0x10000000, |v[10:11]|
	v_mul_f64 v[14:15], v[14:15], -0.5
	v_cndmask_b32_e64 v8, 0, 0x100, s8
	v_mul_f64 v[12:13], v[12:13], v[14:15]
	v_ldexp_f64 v[8:9], |v[10:11]|, v8
	v_rsq_f64_e32 v[10:11], v[8:9]
	v_cmp_class_f64_e64 vcc_lo, v[8:9], 0x260
	v_mul_f64 v[17:18], v[8:9], v[10:11]
	v_mul_f64 v[10:11], v[10:11], 0.5
	v_fma_f64 v[19:20], -v[10:11], v[17:18], 0.5
	v_fma_f64 v[17:18], v[17:18], v[19:20], v[17:18]
	v_fma_f64 v[10:11], v[10:11], v[19:20], v[10:11]
	v_fma_f64 v[19:20], -v[17:18], v[17:18], v[8:9]
	v_fma_f64 v[17:18], v[19:20], v[10:11], v[17:18]
	v_fma_f64 v[19:20], -v[17:18], v[17:18], v[8:9]
	v_fma_f64 v[10:11], v[19:20], v[10:11], v[17:18]
	v_cndmask_b32_e64 v17, 0, 0xffffff80, s8
	v_ldexp_f64 v[10:11], v[10:11], v17
	v_cndmask_b32_e32 v9, v11, v9, vcc_lo
	v_cndmask_b32_e32 v8, v10, v8, vcc_lo
	v_div_scale_f64 v[10:11], null, v[8:9], v[8:9], v[12:13]
	v_rcp_f64_e32 v[14:15], v[10:11]
	v_fma_f64 v[17:18], -v[10:11], v[14:15], 1.0
	v_fma_f64 v[14:15], v[14:15], v[17:18], v[14:15]
	v_fma_f64 v[17:18], -v[10:11], v[14:15], 1.0
	v_fma_f64 v[14:15], v[14:15], v[17:18], v[14:15]
	v_div_scale_f64 v[17:18], vcc_lo, v[12:13], v[8:9], v[12:13]
	v_mul_f64 v[19:20], v[17:18], v[14:15]
	v_fma_f64 v[10:11], -v[10:11], v[19:20], v[17:18]
	v_div_fmas_f64 v[10:11], v[10:11], v[14:15], v[19:20]
	v_div_fixup_f64 v[8:9], v[10:11], v[8:9], v[12:13]
.LBB1_23:
	s_or_b32 exec_lo, exec_lo, s4
.LBB1_24:
	s_or_b32 exec_lo, exec_lo, s5
	s_waitcnt vmcnt(0) lgkmcnt(0)
	v_cmp_ge_f64_e64 s4, 0x40200000, |v[2:3]|
                                        ; implicit-def: $vgpr10_vgpr11
	s_and_saveexec_b32 s5, s4
	s_xor_b32 s4, exec_lo, s5
	s_cbranch_execz .LBB1_30
; %bb.25:
	v_fma_f64 v[10:11], |v[2:3]|, 0.5, -2.0
	s_mov_b32 s8, 0xc38a0576
	s_mov_b32 s9, 0xbc7857d0
	;; [unrolled: 1-line block ×4, first 2 shown]
	s_mov_b32 s5, exec_lo
	v_fma_f64 v[12:13], v[10:11], s[10:11], s[8:9]
	s_mov_b32 s11, 0xbc499f2a
	s_mov_b32 s8, 0xe593bfac
	;; [unrolled: 1-line block ×3, first 2 shown]
	v_fma_f64 v[14:15], v[10:11], v[12:13], s[10:11]
	s_mov_b32 s10, 0x3b39803f
	s_mov_b32 s11, 0xbc7abc9e
	v_add_f64 v[14:15], v[14:15], s[8:9]
	s_mov_b32 s8, 0x7e0d1573
	s_mov_b32 s9, 0xbcd3eaaa
	v_fma_f64 v[12:13], v[10:11], v[14:15], -v[12:13]
	v_add_f64 v[12:13], v[12:13], s[8:9]
	s_mov_b32 s8, 0x615290c
	s_mov_b32 s9, 0x3d011d7f
	v_fma_f64 v[14:15], v[10:11], v[12:13], -v[14:15]
	v_add_f64 v[14:15], v[14:15], s[8:9]
	s_mov_b32 s8, 0x1c8f0b3b
	s_mov_b32 s9, 0xbd2c628e
	v_fma_f64 v[12:13], v[10:11], v[14:15], -v[12:13]
	v_add_f64 v[12:13], v[12:13], s[8:9]
	s_mov_b32 s8, 0x4779d955
	s_mov_b32 s9, 0x3d56af78
	v_fma_f64 v[14:15], v[10:11], v[12:13], -v[14:15]
	v_add_f64 v[14:15], v[14:15], s[8:9]
	s_mov_b32 s8, 0x5fb70366
	s_mov_b32 s9, 0xbd817383
	v_fma_f64 v[12:13], v[10:11], v[14:15], -v[12:13]
	v_add_f64 v[12:13], v[12:13], s[8:9]
	s_mov_b32 s8, 0xb21d3154
	s_mov_b32 s9, 0x3da9cee2
	v_fma_f64 v[14:15], v[10:11], v[12:13], -v[14:15]
	v_add_f64 v[14:15], v[14:15], s[8:9]
	s_mov_b32 s8, 0x97eb07de
	s_mov_b32 s9, 0xbdd25103
	v_fma_f64 v[12:13], v[10:11], v[14:15], -v[12:13]
	v_add_f64 v[12:13], v[12:13], s[8:9]
	s_mov_b32 s8, 0xb43fdf6c
	s_mov_b32 s9, 0x3df8ea34
	v_fma_f64 v[14:15], v[10:11], v[12:13], -v[14:15]
	v_add_f64 v[14:15], v[14:15], s[8:9]
	s_mov_b32 s8, 0x28ea67e6
	s_mov_b32 s9, 0xbe20361b
	v_fma_f64 v[12:13], v[10:11], v[14:15], -v[12:13]
	v_add_f64 v[12:13], v[12:13], s[8:9]
	s_mov_b32 s8, 0x2395010
	s_mov_b32 s9, 0x3e44258e
	v_fma_f64 v[14:15], v[10:11], v[12:13], -v[14:15]
	v_add_f64 v[14:15], v[14:15], s[8:9]
	s_mov_b32 s8, 0x24b8c3e8
	s_mov_b32 s9, 0xbe67dd3e
	v_fma_f64 v[12:13], v[10:11], v[14:15], -v[12:13]
	v_add_f64 v[12:13], v[12:13], s[8:9]
	s_mov_b32 s8, 0xb347d108
	s_mov_b32 s9, 0x3e8ae344
	v_fma_f64 v[14:15], v[10:11], v[12:13], -v[14:15]
	v_add_f64 v[14:15], v[14:15], s[8:9]
	s_mov_b32 s8, 0x8363992a
	s_mov_b32 s9, 0xbeacc079
	v_fma_f64 v[12:13], v[10:11], v[14:15], -v[12:13]
	v_add_f64 v[12:13], v[12:13], s[8:9]
	s_mov_b32 s8, 0xd511afc5
	s_mov_b32 s9, 0x3ecd1c4e
	v_fma_f64 v[14:15], v[10:11], v[12:13], -v[14:15]
	v_add_f64 v[14:15], v[14:15], s[8:9]
	s_mov_b32 s8, 0xb8debbcf
	s_mov_b32 s9, 0xbeebd5f9
	v_fma_f64 v[12:13], v[10:11], v[14:15], -v[12:13]
	v_add_f64 v[12:13], v[12:13], s[8:9]
	s_mov_b32 s8, 0x42c70d0b
	s_mov_b32 s9, 0x3f0911b5
	v_fma_f64 v[14:15], v[10:11], v[12:13], -v[14:15]
	v_add_f64 v[14:15], v[14:15], s[8:9]
	s_mov_b32 s8, 0xd3d694fe
	s_mov_b32 s9, 0xbf2533ca
	v_fma_f64 v[12:13], v[10:11], v[14:15], -v[12:13]
	v_add_f64 v[12:13], v[12:13], s[8:9]
	s_mov_b32 s8, 0xb6c6df7d
	s_mov_b32 s9, 0x3f40c95d
	v_fma_f64 v[14:15], v[10:11], v[12:13], -v[14:15]
	v_add_f64 v[14:15], v[14:15], s[8:9]
	s_mov_b32 s8, 0xb3cd4a4
	s_mov_b32 s9, 0xbf58cc62
	v_fma_f64 v[12:13], v[10:11], v[14:15], -v[12:13]
	v_add_f64 v[12:13], v[12:13], s[8:9]
	s_mov_b32 s8, 0x49d3a1b4
	s_mov_b32 s9, 0x3f710653
	v_fma_f64 v[14:15], v[10:11], v[12:13], -v[14:15]
	v_add_f64 v[14:15], v[14:15], s[8:9]
	s_mov_b32 s8, 0x652b82fe
	s_mov_b32 s9, 0x3ff71547
	v_mul_f64 v[17:18], |v[2:3]|, s[8:9]
	s_mov_b32 s8, 0x7913a26a
	s_mov_b32 s9, 0xbf85a29f
	v_fma_f64 v[12:13], v[10:11], v[14:15], -v[12:13]
	v_rndne_f64_e32 v[17:18], v[17:18]
	v_add_f64 v[12:13], v[12:13], s[8:9]
	s_mov_b32 s8, 0xfefa39ef
	s_mov_b32 s9, 0xbfe62e42
	v_fma_f64 v[19:20], v[17:18], s[8:9], |v[2:3]|
	s_mov_b32 s8, 0xe7bb2349
	s_mov_b32 s9, 0x3f9951e3
	v_fma_f64 v[14:15], v[10:11], v[12:13], -v[14:15]
	v_fma_f64 v[19:20], v[17:18], s[10:11], v[19:20]
	s_mov_b32 s10, 0x6a5dcb37
	s_mov_b32 s11, 0x3e5ade15
	v_cvt_i32_f64_e32 v17, v[17:18]
	v_add_f64 v[14:15], v[14:15], s[8:9]
	s_mov_b32 s8, 0xfca7ab0c
	s_mov_b32 s9, 0x3e928af3
	v_fma_f64 v[21:22], v[19:20], s[10:11], s[8:9]
	s_mov_b32 s8, 0x537c9ebc
	s_mov_b32 s10, 0x623fde64
	;; [unrolled: 1-line block ×4, first 2 shown]
	v_fma_f64 v[12:13], v[10:11], v[14:15], -v[12:13]
	v_fma_f64 v[21:22], v[19:20], v[21:22], s[10:11]
	s_mov_b32 s10, 0x14761f6e
	s_mov_b32 s11, 0x3f2a01a0
	v_add_f64 v[12:13], v[12:13], s[8:9]
	s_mov_b32 s8, 0x7c89e6b0
	s_mov_b32 s9, 0x3efa0199
	v_fma_f64 v[21:22], v[19:20], v[21:22], s[8:9]
	s_mov_b32 s8, 0xd536f53c
	s_mov_b32 s9, 0x3fba46da
	v_fma_f64 v[14:15], v[10:11], v[12:13], -v[14:15]
	v_fma_f64 v[21:22], v[19:20], v[21:22], s[10:11]
	s_mov_b32 s10, 0x11122322
	s_mov_b32 s11, 0x3f811111
	v_add_f64 v[14:15], v[14:15], s[8:9]
	s_mov_b32 s8, 0x1852b7b0
	s_mov_b32 s9, 0x3f56c16c
	v_fma_f64 v[21:22], v[19:20], v[21:22], s[8:9]
	s_mov_b32 s8, 0x469192e
	s_mov_b32 s9, 0xbfc694d1
	;; [unrolled: 10-line block ×3, first 2 shown]
	v_fma_f64 v[10:11], v[10:11], v[12:13], -v[14:15]
	v_fma_f64 v[12:13], v[19:20], v[21:22], s[10:11]
	v_add_f64 v[10:11], v[10:11], s[8:9]
	s_mov_b32 s8, 11
	s_mov_b32 s9, 0x3fe00000
	v_fma_f64 v[12:13], v[19:20], v[12:13], s[8:9]
	v_add_f64 v[10:11], v[10:11], -v[14:15]
	v_fma_f64 v[12:13], v[19:20], v[12:13], 1.0
	v_mul_f64 v[10:11], v[10:11], 0.5
	v_fma_f64 v[14:15], v[19:20], v[12:13], 1.0
	v_mul_f64 v[12:13], |v[2:3]|, v[10:11]
                                        ; implicit-def: $vgpr10_vgpr11
	v_cmpx_ngt_f64_e32 0, v[2:3]
	s_xor_b32 s5, exec_lo, s5
	s_cbranch_execz .LBB1_27
; %bb.26:
	v_ldexp_f64 v[10:11], v[14:15], v17
	v_cmp_nlt_f64_e64 vcc_lo, 0x40900000, |v[2:3]|
                                        ; implicit-def: $vgpr14_vgpr15
                                        ; implicit-def: $vgpr17
	v_cndmask_b32_e32 v3, 0x7ff00000, v11, vcc_lo
	v_cndmask_b32_e32 v2, 0, v10, vcc_lo
	v_mul_f64 v[10:11], v[2:3], v[12:13]
                                        ; implicit-def: $vgpr12_vgpr13
.LBB1_27:
	s_andn2_saveexec_b32 s5, s5
	s_cbranch_execz .LBB1_29
; %bb.28:
	v_ldexp_f64 v[10:11], -v[14:15], v17
	v_cmp_nlt_f64_e64 vcc_lo, 0x40900000, |v[2:3]|
	v_cndmask_b32_e32 v3, 0xfff00000, v11, vcc_lo
	v_cndmask_b32_e32 v2, 0, v10, vcc_lo
	v_mul_f64 v[10:11], v[2:3], v[12:13]
.LBB1_29:
	s_or_b32 exec_lo, exec_lo, s5
.LBB1_30:
	s_andn2_saveexec_b32 s5, s4
	s_cbranch_execz .LBB1_36
; %bb.31:
	v_and_b32_e32 v11, 0x7fffffff, v3
	v_mov_b32_e32 v10, v2
	s_mov_b32 s8, 0xea87b950
	s_mov_b32 s9, 0x3c545b8a
	;; [unrolled: 1-line block ×4, first 2 shown]
	v_div_scale_f64 v[12:13], null, v[10:11], v[10:11], 0x40400000
	v_div_scale_f64 v[10:11], vcc_lo, 0x40400000, v[10:11], 0x40400000
	v_cmp_ngt_f64_e64 s4, 0, v[2:3]
	v_rcp_f64_e32 v[14:15], v[12:13]
	v_fma_f64 v[17:18], -v[12:13], v[14:15], 1.0
	v_fma_f64 v[14:15], v[14:15], v[17:18], v[14:15]
	v_fma_f64 v[17:18], -v[12:13], v[14:15], 1.0
	v_fma_f64 v[14:15], v[14:15], v[17:18], v[14:15]
	v_mul_f64 v[17:18], v[10:11], v[14:15]
	v_fma_f64 v[10:11], -v[12:13], v[17:18], v[10:11]
	v_div_fmas_f64 v[10:11], v[10:11], v[14:15], v[17:18]
	v_cmp_nlt_f64_e64 vcc_lo, 0x40900000, |v[2:3]|
	v_div_fixup_f64 v[10:11], v[10:11], |v[2:3]|, 0x40400000
	v_add_f64 v[10:11], v[10:11], -2.0
	v_fma_f64 v[12:13], v[10:11], s[10:11], s[8:9]
	s_mov_b32 s11, 0xbc61556d
	s_mov_b32 s8, 0xb2532277
	;; [unrolled: 1-line block ×3, first 2 shown]
	v_fma_f64 v[14:15], v[10:11], v[12:13], s[10:11]
	s_mov_b32 s10, 0x6a5dcb37
	s_mov_b32 s11, 0x3e5ade15
	v_add_f64 v[14:15], v[14:15], s[8:9]
	s_mov_b32 s8, 0x9c773320
	s_mov_b32 s9, 0xbc82806c
	v_fma_f64 v[12:13], v[10:11], v[14:15], -v[12:13]
	v_add_f64 v[12:13], v[12:13], s[8:9]
	s_mov_b32 s8, 0xfceb588a
	s_mov_b32 s9, 0x3cb55915
	v_fma_f64 v[14:15], v[10:11], v[12:13], -v[14:15]
	;; [unrolled: 4-line block ×14, first 2 shown]
	v_add_f64 v[14:15], v[14:15], s[8:9]
	s_mov_b32 s8, 0x652b82fe
	s_mov_b32 s9, 0x3ff71547
	v_mul_f64 v[17:18], |v[2:3]|, s[8:9]
	s_mov_b32 s8, 0x5423dd80
	s_mov_b32 s9, 0xbe0334ca
	v_fma_f64 v[12:13], v[10:11], v[14:15], -v[12:13]
	v_rndne_f64_e32 v[17:18], v[17:18]
	v_add_f64 v[12:13], v[12:13], s[8:9]
	s_mov_b32 s8, 0xfefa39ef
	s_mov_b32 s9, 0xbfe62e42
	v_fma_f64 v[19:20], v[17:18], s[8:9], |v[2:3]|
	s_mov_b32 s8, 0x9ad53528
	s_mov_b32 s9, 0xbe30790b
	v_fma_f64 v[14:15], v[10:11], v[12:13], -v[14:15]
	v_add_f64 v[14:15], v[14:15], s[8:9]
	s_mov_b32 s8, 0x3b39803f
	s_mov_b32 s9, 0xbc7abc9e
	v_fma_f64 v[19:20], v[17:18], s[8:9], v[19:20]
	s_mov_b32 s8, 0xfca7ab0c
	s_mov_b32 s9, 0x3e928af3
	v_cvt_i32_f64_e32 v17, v[17:18]
	v_fma_f64 v[12:13], v[10:11], v[14:15], -v[12:13]
	v_fma_f64 v[21:22], v[19:20], s[10:11], s[8:9]
	s_mov_b32 s8, 0x94bb46c1
	s_mov_b32 s9, 0xbe5c4153
	v_add_f64 v[12:13], v[12:13], s[8:9]
	s_mov_b32 s8, 0x623fde64
	s_mov_b32 s9, 0x3ec71dee
	v_fma_f64 v[21:22], v[19:20], v[21:22], s[8:9]
	s_mov_b32 s8, 0x7c89e6b0
	s_mov_b32 s9, 0x3efa0199
	v_fma_f64 v[14:15], v[10:11], v[12:13], -v[14:15]
	v_fma_f64 v[21:22], v[19:20], v[21:22], s[8:9]
	s_mov_b32 s8, 0x2e9e5443
	s_mov_b32 s9, 0xbe90dbfd
	v_add_f64 v[14:15], v[14:15], s[8:9]
	s_mov_b32 s8, 0x14761f6e
	s_mov_b32 s9, 0x3f2a01a0
	v_fma_f64 v[21:22], v[19:20], v[21:22], s[8:9]
	s_mov_b32 s8, 0x1852b7b0
	s_mov_b32 s9, 0x3f56c16c
	;; [unrolled: 10-line block ×4, first 2 shown]
	v_fma_f64 v[12:13], v[10:11], v[14:15], -v[12:13]
	v_fma_f64 v[21:22], v[19:20], v[21:22], s[8:9]
	s_mov_b32 s8, 0x53fcdb4c
	s_mov_b32 s9, 0xbf83fda0
	v_add_f64 v[12:13], v[12:13], s[8:9]
	s_mov_b32 s8, 0xb55b1514
	s_mov_b32 s9, 0x3fe8ea18
	v_fma_f64 v[21:22], v[19:20], v[21:22], 1.0
	v_fma_f64 v[10:11], v[10:11], v[12:13], -v[14:15]
	v_fma_f64 v[12:13], v[19:20], v[21:22], 1.0
	v_add_f64 v[10:11], v[10:11], s[8:9]
	v_ldexp_f64 v[12:13], v[12:13], v17
	v_add_f64 v[14:15], v[10:11], -v[14:15]
                                        ; implicit-def: $vgpr10_vgpr11
	v_cndmask_b32_e32 v13, 0x7ff00000, v13, vcc_lo
	v_cndmask_b32_e32 v12, 0, v12, vcc_lo
	s_and_saveexec_b32 s8, s4
	s_xor_b32 s4, exec_lo, s8
	s_cbranch_execz .LBB1_33
; %bb.32:
	v_cmp_gt_f64_e64 s8, 0x10000000, |v[2:3]|
	v_mul_f64 v[14:15], v[14:15], 0.5
	v_cndmask_b32_e64 v10, 0, 0x100, s8
	v_mul_f64 v[12:13], v[12:13], v[14:15]
	v_ldexp_f64 v[2:3], |v[2:3]|, v10
	v_rsq_f64_e32 v[10:11], v[2:3]
	v_cmp_class_f64_e64 vcc_lo, v[2:3], 0x260
	v_mul_f64 v[17:18], v[2:3], v[10:11]
	v_mul_f64 v[10:11], v[10:11], 0.5
	v_fma_f64 v[19:20], -v[10:11], v[17:18], 0.5
	v_fma_f64 v[17:18], v[17:18], v[19:20], v[17:18]
	v_fma_f64 v[10:11], v[10:11], v[19:20], v[10:11]
	v_fma_f64 v[19:20], -v[17:18], v[17:18], v[2:3]
	v_fma_f64 v[17:18], v[19:20], v[10:11], v[17:18]
	v_fma_f64 v[19:20], -v[17:18], v[17:18], v[2:3]
	v_fma_f64 v[10:11], v[19:20], v[10:11], v[17:18]
	v_cndmask_b32_e64 v17, 0, 0xffffff80, s8
	v_ldexp_f64 v[10:11], v[10:11], v17
	v_cndmask_b32_e32 v3, v11, v3, vcc_lo
	v_cndmask_b32_e32 v2, v10, v2, vcc_lo
	v_div_scale_f64 v[10:11], null, v[2:3], v[2:3], v[12:13]
	v_rcp_f64_e32 v[14:15], v[10:11]
	v_fma_f64 v[17:18], -v[10:11], v[14:15], 1.0
	v_fma_f64 v[14:15], v[14:15], v[17:18], v[14:15]
	v_fma_f64 v[17:18], -v[10:11], v[14:15], 1.0
	v_fma_f64 v[14:15], v[14:15], v[17:18], v[14:15]
	v_div_scale_f64 v[17:18], vcc_lo, v[12:13], v[2:3], v[12:13]
	v_mul_f64 v[19:20], v[17:18], v[14:15]
	v_fma_f64 v[10:11], -v[10:11], v[19:20], v[17:18]
	v_div_fmas_f64 v[10:11], v[10:11], v[14:15], v[19:20]
                                        ; implicit-def: $vgpr14_vgpr15
	v_div_fixup_f64 v[10:11], v[10:11], v[2:3], v[12:13]
                                        ; implicit-def: $vgpr12_vgpr13
.LBB1_33:
	s_andn2_saveexec_b32 s4, s4
	s_cbranch_execz .LBB1_35
; %bb.34:
	v_cmp_gt_f64_e64 s8, 0x10000000, |v[2:3]|
	v_mul_f64 v[14:15], v[14:15], -0.5
	v_cndmask_b32_e64 v10, 0, 0x100, s8
	v_mul_f64 v[12:13], v[12:13], v[14:15]
	v_ldexp_f64 v[2:3], |v[2:3]|, v10
	v_rsq_f64_e32 v[10:11], v[2:3]
	v_cmp_class_f64_e64 vcc_lo, v[2:3], 0x260
	v_mul_f64 v[17:18], v[2:3], v[10:11]
	v_mul_f64 v[10:11], v[10:11], 0.5
	v_fma_f64 v[19:20], -v[10:11], v[17:18], 0.5
	v_fma_f64 v[17:18], v[17:18], v[19:20], v[17:18]
	v_fma_f64 v[10:11], v[10:11], v[19:20], v[10:11]
	v_fma_f64 v[19:20], -v[17:18], v[17:18], v[2:3]
	v_fma_f64 v[17:18], v[19:20], v[10:11], v[17:18]
	v_fma_f64 v[19:20], -v[17:18], v[17:18], v[2:3]
	v_fma_f64 v[10:11], v[19:20], v[10:11], v[17:18]
	v_cndmask_b32_e64 v17, 0, 0xffffff80, s8
	v_ldexp_f64 v[10:11], v[10:11], v17
	v_cndmask_b32_e32 v3, v11, v3, vcc_lo
	v_cndmask_b32_e32 v2, v10, v2, vcc_lo
	v_div_scale_f64 v[10:11], null, v[2:3], v[2:3], v[12:13]
	v_rcp_f64_e32 v[14:15], v[10:11]
	v_fma_f64 v[17:18], -v[10:11], v[14:15], 1.0
	v_fma_f64 v[14:15], v[14:15], v[17:18], v[14:15]
	v_fma_f64 v[17:18], -v[10:11], v[14:15], 1.0
	v_fma_f64 v[14:15], v[14:15], v[17:18], v[14:15]
	v_div_scale_f64 v[17:18], vcc_lo, v[12:13], v[2:3], v[12:13]
	v_mul_f64 v[19:20], v[17:18], v[14:15]
	v_fma_f64 v[10:11], -v[10:11], v[19:20], v[17:18]
	v_div_fmas_f64 v[10:11], v[10:11], v[14:15], v[19:20]
	v_div_fixup_f64 v[10:11], v[10:11], v[2:3], v[12:13]
.LBB1_35:
	s_or_b32 exec_lo, exec_lo, s4
.LBB1_36:
	s_or_b32 exec_lo, exec_lo, s5
	v_cmp_ge_f64_e64 s4, 0x40200000, |v[4:5]|
	s_and_saveexec_b32 s5, s4
	s_xor_b32 s4, exec_lo, s5
	s_cbranch_execz .LBB1_42
; %bb.37:
	v_fma_f64 v[2:3], |v[4:5]|, 0.5, -2.0
	s_mov_b32 s8, 0xc38a0576
	s_mov_b32 s9, 0xbc7857d0
	;; [unrolled: 1-line block ×4, first 2 shown]
	s_mov_b32 s5, exec_lo
	v_fma_f64 v[12:13], v[2:3], s[10:11], s[8:9]
	s_mov_b32 s11, 0xbc499f2a
	s_mov_b32 s8, 0xe593bfac
	;; [unrolled: 1-line block ×3, first 2 shown]
	v_fma_f64 v[14:15], v[2:3], v[12:13], s[10:11]
	s_mov_b32 s10, 0x3b39803f
	s_mov_b32 s11, 0xbc7abc9e
	v_add_f64 v[14:15], v[14:15], s[8:9]
	s_mov_b32 s8, 0x7e0d1573
	s_mov_b32 s9, 0xbcd3eaaa
	v_fma_f64 v[12:13], v[2:3], v[14:15], -v[12:13]
	v_add_f64 v[12:13], v[12:13], s[8:9]
	s_mov_b32 s8, 0x615290c
	s_mov_b32 s9, 0x3d011d7f
	v_fma_f64 v[14:15], v[2:3], v[12:13], -v[14:15]
	v_add_f64 v[14:15], v[14:15], s[8:9]
	s_mov_b32 s8, 0x1c8f0b3b
	s_mov_b32 s9, 0xbd2c628e
	v_fma_f64 v[12:13], v[2:3], v[14:15], -v[12:13]
	v_add_f64 v[12:13], v[12:13], s[8:9]
	s_mov_b32 s8, 0x4779d955
	s_mov_b32 s9, 0x3d56af78
	v_fma_f64 v[14:15], v[2:3], v[12:13], -v[14:15]
	v_add_f64 v[14:15], v[14:15], s[8:9]
	s_mov_b32 s8, 0x5fb70366
	s_mov_b32 s9, 0xbd817383
	v_fma_f64 v[12:13], v[2:3], v[14:15], -v[12:13]
	v_add_f64 v[12:13], v[12:13], s[8:9]
	s_mov_b32 s8, 0xb21d3154
	s_mov_b32 s9, 0x3da9cee2
	v_fma_f64 v[14:15], v[2:3], v[12:13], -v[14:15]
	v_add_f64 v[14:15], v[14:15], s[8:9]
	s_mov_b32 s8, 0x97eb07de
	s_mov_b32 s9, 0xbdd25103
	v_fma_f64 v[12:13], v[2:3], v[14:15], -v[12:13]
	v_add_f64 v[12:13], v[12:13], s[8:9]
	s_mov_b32 s8, 0xb43fdf6c
	s_mov_b32 s9, 0x3df8ea34
	v_fma_f64 v[14:15], v[2:3], v[12:13], -v[14:15]
	v_add_f64 v[14:15], v[14:15], s[8:9]
	s_mov_b32 s8, 0x28ea67e6
	s_mov_b32 s9, 0xbe20361b
	v_fma_f64 v[12:13], v[2:3], v[14:15], -v[12:13]
	v_add_f64 v[12:13], v[12:13], s[8:9]
	s_mov_b32 s8, 0x2395010
	s_mov_b32 s9, 0x3e44258e
	v_fma_f64 v[14:15], v[2:3], v[12:13], -v[14:15]
	v_add_f64 v[14:15], v[14:15], s[8:9]
	s_mov_b32 s8, 0x24b8c3e8
	s_mov_b32 s9, 0xbe67dd3e
	v_fma_f64 v[12:13], v[2:3], v[14:15], -v[12:13]
	v_add_f64 v[12:13], v[12:13], s[8:9]
	s_mov_b32 s8, 0xb347d108
	s_mov_b32 s9, 0x3e8ae344
	v_fma_f64 v[14:15], v[2:3], v[12:13], -v[14:15]
	v_add_f64 v[14:15], v[14:15], s[8:9]
	s_mov_b32 s8, 0x8363992a
	s_mov_b32 s9, 0xbeacc079
	v_fma_f64 v[12:13], v[2:3], v[14:15], -v[12:13]
	v_add_f64 v[12:13], v[12:13], s[8:9]
	s_mov_b32 s8, 0xd511afc5
	s_mov_b32 s9, 0x3ecd1c4e
	v_fma_f64 v[14:15], v[2:3], v[12:13], -v[14:15]
	v_add_f64 v[14:15], v[14:15], s[8:9]
	s_mov_b32 s8, 0xb8debbcf
	s_mov_b32 s9, 0xbeebd5f9
	v_fma_f64 v[12:13], v[2:3], v[14:15], -v[12:13]
	v_add_f64 v[12:13], v[12:13], s[8:9]
	s_mov_b32 s8, 0x42c70d0b
	s_mov_b32 s9, 0x3f0911b5
	v_fma_f64 v[14:15], v[2:3], v[12:13], -v[14:15]
	v_add_f64 v[14:15], v[14:15], s[8:9]
	s_mov_b32 s8, 0xd3d694fe
	s_mov_b32 s9, 0xbf2533ca
	v_fma_f64 v[12:13], v[2:3], v[14:15], -v[12:13]
	v_add_f64 v[12:13], v[12:13], s[8:9]
	s_mov_b32 s8, 0xb6c6df7d
	s_mov_b32 s9, 0x3f40c95d
	v_fma_f64 v[14:15], v[2:3], v[12:13], -v[14:15]
	v_add_f64 v[14:15], v[14:15], s[8:9]
	s_mov_b32 s8, 0xb3cd4a4
	s_mov_b32 s9, 0xbf58cc62
	v_fma_f64 v[12:13], v[2:3], v[14:15], -v[12:13]
	v_add_f64 v[12:13], v[12:13], s[8:9]
	s_mov_b32 s8, 0x49d3a1b4
	s_mov_b32 s9, 0x3f710653
	v_fma_f64 v[14:15], v[2:3], v[12:13], -v[14:15]
	v_add_f64 v[14:15], v[14:15], s[8:9]
	s_mov_b32 s8, 0x652b82fe
	s_mov_b32 s9, 0x3ff71547
	v_mul_f64 v[17:18], |v[4:5]|, s[8:9]
	s_mov_b32 s8, 0x7913a26a
	s_mov_b32 s9, 0xbf85a29f
	v_fma_f64 v[12:13], v[2:3], v[14:15], -v[12:13]
	v_rndne_f64_e32 v[17:18], v[17:18]
	v_add_f64 v[12:13], v[12:13], s[8:9]
	s_mov_b32 s8, 0xfefa39ef
	s_mov_b32 s9, 0xbfe62e42
	v_fma_f64 v[19:20], v[17:18], s[8:9], |v[4:5]|
	s_mov_b32 s8, 0xe7bb2349
	s_mov_b32 s9, 0x3f9951e3
	v_fma_f64 v[14:15], v[2:3], v[12:13], -v[14:15]
	v_fma_f64 v[19:20], v[17:18], s[10:11], v[19:20]
	s_mov_b32 s10, 0x6a5dcb37
	s_mov_b32 s11, 0x3e5ade15
	v_cvt_i32_f64_e32 v17, v[17:18]
	v_add_f64 v[14:15], v[14:15], s[8:9]
	s_mov_b32 s8, 0xfca7ab0c
	s_mov_b32 s9, 0x3e928af3
	v_fma_f64 v[21:22], v[19:20], s[10:11], s[8:9]
	s_mov_b32 s8, 0x537c9ebc
	s_mov_b32 s10, 0x623fde64
	;; [unrolled: 1-line block ×4, first 2 shown]
	v_fma_f64 v[12:13], v[2:3], v[14:15], -v[12:13]
	v_fma_f64 v[21:22], v[19:20], v[21:22], s[10:11]
	s_mov_b32 s10, 0x14761f6e
	s_mov_b32 s11, 0x3f2a01a0
	v_add_f64 v[12:13], v[12:13], s[8:9]
	s_mov_b32 s8, 0x7c89e6b0
	s_mov_b32 s9, 0x3efa0199
	v_fma_f64 v[21:22], v[19:20], v[21:22], s[8:9]
	s_mov_b32 s8, 0xd536f53c
	s_mov_b32 s9, 0x3fba46da
	v_fma_f64 v[14:15], v[2:3], v[12:13], -v[14:15]
	v_fma_f64 v[21:22], v[19:20], v[21:22], s[10:11]
	s_mov_b32 s10, 0x11122322
	s_mov_b32 s11, 0x3f811111
	v_add_f64 v[14:15], v[14:15], s[8:9]
	s_mov_b32 s8, 0x1852b7b0
	s_mov_b32 s9, 0x3f56c16c
	v_fma_f64 v[21:22], v[19:20], v[21:22], s[8:9]
	s_mov_b32 s8, 0x469192e
	s_mov_b32 s9, 0xbfc694d1
	;; [unrolled: 10-line block ×3, first 2 shown]
	v_fma_f64 v[2:3], v[2:3], v[12:13], -v[14:15]
	v_fma_f64 v[12:13], v[19:20], v[21:22], s[10:11]
	v_add_f64 v[2:3], v[2:3], s[8:9]
	s_mov_b32 s8, 11
	s_mov_b32 s9, 0x3fe00000
	v_fma_f64 v[12:13], v[19:20], v[12:13], s[8:9]
	v_add_f64 v[2:3], v[2:3], -v[14:15]
	v_fma_f64 v[12:13], v[19:20], v[12:13], 1.0
	v_mul_f64 v[2:3], v[2:3], 0.5
	v_fma_f64 v[14:15], v[19:20], v[12:13], 1.0
	v_mul_f64 v[2:3], |v[4:5]|, v[2:3]
	v_cmpx_ngt_f64_e32 0, v[4:5]
	s_xor_b32 s5, exec_lo, s5
	s_cbranch_execz .LBB1_39
; %bb.38:
	v_ldexp_f64 v[12:13], v[14:15], v17
	v_cmp_nlt_f64_e64 vcc_lo, 0x40900000, |v[4:5]|
                                        ; implicit-def: $vgpr14_vgpr15
                                        ; implicit-def: $vgpr17
	v_cndmask_b32_e32 v5, 0x7ff00000, v13, vcc_lo
	v_cndmask_b32_e32 v4, 0, v12, vcc_lo
	v_mul_f64 v[12:13], v[4:5], v[2:3]
                                        ; implicit-def: $vgpr4_vgpr5
                                        ; implicit-def: $vgpr2_vgpr3
.LBB1_39:
	s_andn2_saveexec_b32 s5, s5
	s_cbranch_execz .LBB1_41
; %bb.40:
	v_ldexp_f64 v[12:13], -v[14:15], v17
	v_cmp_nlt_f64_e64 vcc_lo, 0x40900000, |v[4:5]|
	v_cndmask_b32_e32 v5, 0xfff00000, v13, vcc_lo
	v_cndmask_b32_e32 v4, 0, v12, vcc_lo
	v_mul_f64 v[12:13], v[4:5], v[2:3]
.LBB1_41:
	s_or_b32 exec_lo, exec_lo, s5
                                        ; implicit-def: $vgpr4_vgpr5
.LBB1_42:
	s_andn2_saveexec_b32 s5, s4
	s_cbranch_execz .LBB1_48
; %bb.43:
	v_and_b32_e32 v3, 0x7fffffff, v5
	v_mov_b32_e32 v2, v4
	s_mov_b32 s8, 0xea87b950
	s_mov_b32 s9, 0x3c545b8a
	;; [unrolled: 1-line block ×4, first 2 shown]
	v_div_scale_f64 v[12:13], null, v[2:3], v[2:3], 0x40400000
	v_div_scale_f64 v[2:3], vcc_lo, 0x40400000, v[2:3], 0x40400000
	v_cmp_ngt_f64_e64 s4, 0, v[4:5]
	v_rcp_f64_e32 v[14:15], v[12:13]
	v_fma_f64 v[17:18], -v[12:13], v[14:15], 1.0
	v_fma_f64 v[14:15], v[14:15], v[17:18], v[14:15]
	v_fma_f64 v[17:18], -v[12:13], v[14:15], 1.0
	v_fma_f64 v[14:15], v[14:15], v[17:18], v[14:15]
	v_mul_f64 v[17:18], v[2:3], v[14:15]
	v_fma_f64 v[2:3], -v[12:13], v[17:18], v[2:3]
	v_div_fmas_f64 v[2:3], v[2:3], v[14:15], v[17:18]
	v_cmp_nlt_f64_e64 vcc_lo, 0x40900000, |v[4:5]|
	v_div_fixup_f64 v[2:3], v[2:3], |v[4:5]|, 0x40400000
	v_add_f64 v[2:3], v[2:3], -2.0
	v_fma_f64 v[12:13], v[2:3], s[10:11], s[8:9]
	s_mov_b32 s11, 0xbc61556d
	s_mov_b32 s8, 0xb2532277
	;; [unrolled: 1-line block ×3, first 2 shown]
	v_fma_f64 v[14:15], v[2:3], v[12:13], s[10:11]
	s_mov_b32 s10, 0x6a5dcb37
	s_mov_b32 s11, 0x3e5ade15
	v_add_f64 v[14:15], v[14:15], s[8:9]
	s_mov_b32 s8, 0x9c773320
	s_mov_b32 s9, 0xbc82806c
	v_fma_f64 v[12:13], v[2:3], v[14:15], -v[12:13]
	v_add_f64 v[12:13], v[12:13], s[8:9]
	s_mov_b32 s8, 0xfceb588a
	s_mov_b32 s9, 0x3cb55915
	v_fma_f64 v[14:15], v[2:3], v[12:13], -v[14:15]
	;; [unrolled: 4-line block ×14, first 2 shown]
	v_add_f64 v[14:15], v[14:15], s[8:9]
	s_mov_b32 s8, 0x652b82fe
	s_mov_b32 s9, 0x3ff71547
	v_mul_f64 v[17:18], |v[4:5]|, s[8:9]
	s_mov_b32 s8, 0x5423dd80
	s_mov_b32 s9, 0xbe0334ca
	v_fma_f64 v[12:13], v[2:3], v[14:15], -v[12:13]
	v_rndne_f64_e32 v[17:18], v[17:18]
	v_add_f64 v[12:13], v[12:13], s[8:9]
	s_mov_b32 s8, 0xfefa39ef
	s_mov_b32 s9, 0xbfe62e42
	v_fma_f64 v[19:20], v[17:18], s[8:9], |v[4:5]|
	s_mov_b32 s8, 0x9ad53528
	s_mov_b32 s9, 0xbe30790b
	v_fma_f64 v[14:15], v[2:3], v[12:13], -v[14:15]
	v_add_f64 v[14:15], v[14:15], s[8:9]
	s_mov_b32 s8, 0x3b39803f
	s_mov_b32 s9, 0xbc7abc9e
	v_fma_f64 v[19:20], v[17:18], s[8:9], v[19:20]
	s_mov_b32 s8, 0xfca7ab0c
	s_mov_b32 s9, 0x3e928af3
	v_cvt_i32_f64_e32 v17, v[17:18]
	v_fma_f64 v[12:13], v[2:3], v[14:15], -v[12:13]
	v_fma_f64 v[21:22], v[19:20], s[10:11], s[8:9]
	s_mov_b32 s8, 0x94bb46c1
	s_mov_b32 s9, 0xbe5c4153
	v_add_f64 v[12:13], v[12:13], s[8:9]
	s_mov_b32 s8, 0x623fde64
	s_mov_b32 s9, 0x3ec71dee
	v_fma_f64 v[21:22], v[19:20], v[21:22], s[8:9]
	s_mov_b32 s8, 0x7c89e6b0
	s_mov_b32 s9, 0x3efa0199
	v_fma_f64 v[14:15], v[2:3], v[12:13], -v[14:15]
	v_fma_f64 v[21:22], v[19:20], v[21:22], s[8:9]
	s_mov_b32 s8, 0x2e9e5443
	s_mov_b32 s9, 0xbe90dbfd
	v_add_f64 v[14:15], v[14:15], s[8:9]
	s_mov_b32 s8, 0x14761f6e
	s_mov_b32 s9, 0x3f2a01a0
	v_fma_f64 v[21:22], v[19:20], v[21:22], s[8:9]
	s_mov_b32 s8, 0x1852b7b0
	s_mov_b32 s9, 0x3f56c16c
	;; [unrolled: 10-line block ×4, first 2 shown]
	v_fma_f64 v[12:13], v[2:3], v[14:15], -v[12:13]
	v_fma_f64 v[21:22], v[19:20], v[21:22], s[8:9]
	s_mov_b32 s8, 0x53fcdb4c
	s_mov_b32 s9, 0xbf83fda0
	v_add_f64 v[12:13], v[12:13], s[8:9]
	s_mov_b32 s8, 0xb55b1514
	s_mov_b32 s9, 0x3fe8ea18
	v_fma_f64 v[21:22], v[19:20], v[21:22], 1.0
	v_fma_f64 v[2:3], v[2:3], v[12:13], -v[14:15]
	v_fma_f64 v[12:13], v[19:20], v[21:22], 1.0
	v_add_f64 v[2:3], v[2:3], s[8:9]
	v_ldexp_f64 v[12:13], v[12:13], v17
	v_add_f64 v[14:15], v[2:3], -v[14:15]
	v_cndmask_b32_e32 v3, 0x7ff00000, v13, vcc_lo
	v_cndmask_b32_e32 v2, 0, v12, vcc_lo
	s_and_saveexec_b32 s8, s4
	s_xor_b32 s4, exec_lo, s8
	s_cbranch_execz .LBB1_45
; %bb.44:
	v_cmp_gt_f64_e64 s8, 0x10000000, |v[4:5]|
	v_mul_f64 v[14:15], v[14:15], 0.5
	v_cndmask_b32_e64 v12, 0, 0x100, s8
	v_mul_f64 v[2:3], v[2:3], v[14:15]
	v_ldexp_f64 v[4:5], |v[4:5]|, v12
	v_rsq_f64_e32 v[12:13], v[4:5]
	v_cmp_class_f64_e64 vcc_lo, v[4:5], 0x260
	v_mul_f64 v[17:18], v[4:5], v[12:13]
	v_mul_f64 v[12:13], v[12:13], 0.5
	v_fma_f64 v[19:20], -v[12:13], v[17:18], 0.5
	v_fma_f64 v[17:18], v[17:18], v[19:20], v[17:18]
	v_fma_f64 v[12:13], v[12:13], v[19:20], v[12:13]
	v_fma_f64 v[19:20], -v[17:18], v[17:18], v[4:5]
	v_fma_f64 v[17:18], v[19:20], v[12:13], v[17:18]
	v_fma_f64 v[19:20], -v[17:18], v[17:18], v[4:5]
	v_fma_f64 v[12:13], v[19:20], v[12:13], v[17:18]
	v_cndmask_b32_e64 v17, 0, 0xffffff80, s8
	v_ldexp_f64 v[12:13], v[12:13], v17
	v_cndmask_b32_e32 v5, v13, v5, vcc_lo
	v_cndmask_b32_e32 v4, v12, v4, vcc_lo
	v_div_scale_f64 v[12:13], null, v[4:5], v[4:5], v[2:3]
	v_rcp_f64_e32 v[14:15], v[12:13]
	v_fma_f64 v[17:18], -v[12:13], v[14:15], 1.0
	v_fma_f64 v[14:15], v[14:15], v[17:18], v[14:15]
	v_fma_f64 v[17:18], -v[12:13], v[14:15], 1.0
	v_fma_f64 v[14:15], v[14:15], v[17:18], v[14:15]
	v_div_scale_f64 v[17:18], vcc_lo, v[2:3], v[4:5], v[2:3]
	v_mul_f64 v[19:20], v[17:18], v[14:15]
	v_fma_f64 v[12:13], -v[12:13], v[19:20], v[17:18]
	v_div_fmas_f64 v[12:13], v[12:13], v[14:15], v[19:20]
                                        ; implicit-def: $vgpr14_vgpr15
	v_div_fixup_f64 v[12:13], v[12:13], v[4:5], v[2:3]
                                        ; implicit-def: $vgpr4_vgpr5
                                        ; implicit-def: $vgpr2_vgpr3
.LBB1_45:
	s_andn2_saveexec_b32 s4, s4
	s_cbranch_execz .LBB1_47
; %bb.46:
	v_cmp_gt_f64_e64 s8, 0x10000000, |v[4:5]|
	v_mul_f64 v[14:15], v[14:15], -0.5
	v_cndmask_b32_e64 v12, 0, 0x100, s8
	v_mul_f64 v[2:3], v[2:3], v[14:15]
	v_ldexp_f64 v[4:5], |v[4:5]|, v12
	v_rsq_f64_e32 v[12:13], v[4:5]
	v_cmp_class_f64_e64 vcc_lo, v[4:5], 0x260
	v_mul_f64 v[17:18], v[4:5], v[12:13]
	v_mul_f64 v[12:13], v[12:13], 0.5
	v_fma_f64 v[19:20], -v[12:13], v[17:18], 0.5
	v_fma_f64 v[17:18], v[17:18], v[19:20], v[17:18]
	v_fma_f64 v[12:13], v[12:13], v[19:20], v[12:13]
	v_fma_f64 v[19:20], -v[17:18], v[17:18], v[4:5]
	v_fma_f64 v[17:18], v[19:20], v[12:13], v[17:18]
	v_fma_f64 v[19:20], -v[17:18], v[17:18], v[4:5]
	v_fma_f64 v[12:13], v[19:20], v[12:13], v[17:18]
	v_cndmask_b32_e64 v17, 0, 0xffffff80, s8
	v_ldexp_f64 v[12:13], v[12:13], v17
	v_cndmask_b32_e32 v5, v13, v5, vcc_lo
	v_cndmask_b32_e32 v4, v12, v4, vcc_lo
	v_div_scale_f64 v[12:13], null, v[4:5], v[4:5], v[2:3]
	v_rcp_f64_e32 v[14:15], v[12:13]
	v_fma_f64 v[17:18], -v[12:13], v[14:15], 1.0
	v_fma_f64 v[14:15], v[14:15], v[17:18], v[14:15]
	v_fma_f64 v[17:18], -v[12:13], v[14:15], 1.0
	v_fma_f64 v[14:15], v[14:15], v[17:18], v[14:15]
	v_div_scale_f64 v[17:18], vcc_lo, v[2:3], v[4:5], v[2:3]
	v_mul_f64 v[19:20], v[17:18], v[14:15]
	v_fma_f64 v[12:13], -v[12:13], v[19:20], v[17:18]
	v_div_fmas_f64 v[12:13], v[12:13], v[14:15], v[19:20]
	v_div_fixup_f64 v[12:13], v[12:13], v[4:5], v[2:3]
.LBB1_47:
	s_or_b32 exec_lo, exec_lo, s4
.LBB1_48:
	s_or_b32 exec_lo, exec_lo, s5
	v_add_co_u32 v0, vcc_lo, v0, s6
	v_add_co_ci_u32_e64 v1, null, s7, v1, vcc_lo
	v_add_co_u32 v0, vcc_lo, v0, v16
	v_add_co_ci_u32_e64 v1, null, 0, v1, vcc_lo
	flat_store_dwordx4 v[0:1], v[6:9]
	flat_store_dwordx4 v[0:1], v[10:13] offset:16
	s_waitcnt lgkmcnt(0)
	s_setpc_b64 s[30:31]
.Lfunc_end1:
	.size	_ZN2at6native25elementwise_kernel_helperILb0EZZZNS0_12_GLOBAL__N_130modified_bessel_i1_kernel_cudaERNS_18TensorIteratorBaseEENKUlvE_clEvENKUlvE_clEvEUldE_NS0_6memory8policies10vectorizedILi4ESt5arrayIPcLm2EELi4EEEEEvT0_T1_, .Lfunc_end1-_ZN2at6native25elementwise_kernel_helperILb0EZZZNS0_12_GLOBAL__N_130modified_bessel_i1_kernel_cudaERNS_18TensorIteratorBaseEENKUlvE_clEvENKUlvE_clEvEUldE_NS0_6memory8policies10vectorizedILi4ESt5arrayIPcLm2EELi4EEEEEvT0_T1_
                                        ; -- End function
	.set .L_ZN2at6native25elementwise_kernel_helperILb0EZZZNS0_12_GLOBAL__N_130modified_bessel_i1_kernel_cudaERNS_18TensorIteratorBaseEENKUlvE_clEvENKUlvE_clEvEUldE_NS0_6memory8policies10vectorizedILi4ESt5arrayIPcLm2EELi4EEEEEvT0_T1_.num_vgpr, 32
	.set .L_ZN2at6native25elementwise_kernel_helperILb0EZZZNS0_12_GLOBAL__N_130modified_bessel_i1_kernel_cudaERNS_18TensorIteratorBaseEENKUlvE_clEvENKUlvE_clEvEUldE_NS0_6memory8policies10vectorizedILi4ESt5arrayIPcLm2EELi4EEEEEvT0_T1_.num_agpr, 0
	.set .L_ZN2at6native25elementwise_kernel_helperILb0EZZZNS0_12_GLOBAL__N_130modified_bessel_i1_kernel_cudaERNS_18TensorIteratorBaseEENKUlvE_clEvENKUlvE_clEvEUldE_NS0_6memory8policies10vectorizedILi4ESt5arrayIPcLm2EELi4EEEEEvT0_T1_.numbered_sgpr, 32
	.set .L_ZN2at6native25elementwise_kernel_helperILb0EZZZNS0_12_GLOBAL__N_130modified_bessel_i1_kernel_cudaERNS_18TensorIteratorBaseEENKUlvE_clEvENKUlvE_clEvEUldE_NS0_6memory8policies10vectorizedILi4ESt5arrayIPcLm2EELi4EEEEEvT0_T1_.num_named_barrier, 0
	.set .L_ZN2at6native25elementwise_kernel_helperILb0EZZZNS0_12_GLOBAL__N_130modified_bessel_i1_kernel_cudaERNS_18TensorIteratorBaseEENKUlvE_clEvENKUlvE_clEvEUldE_NS0_6memory8policies10vectorizedILi4ESt5arrayIPcLm2EELi4EEEEEvT0_T1_.private_seg_size, 0
	.set .L_ZN2at6native25elementwise_kernel_helperILb0EZZZNS0_12_GLOBAL__N_130modified_bessel_i1_kernel_cudaERNS_18TensorIteratorBaseEENKUlvE_clEvENKUlvE_clEvEUldE_NS0_6memory8policies10vectorizedILi4ESt5arrayIPcLm2EELi4EEEEEvT0_T1_.uses_vcc, 1
	.set .L_ZN2at6native25elementwise_kernel_helperILb0EZZZNS0_12_GLOBAL__N_130modified_bessel_i1_kernel_cudaERNS_18TensorIteratorBaseEENKUlvE_clEvENKUlvE_clEvEUldE_NS0_6memory8policies10vectorizedILi4ESt5arrayIPcLm2EELi4EEEEEvT0_T1_.uses_flat_scratch, 1
	.set .L_ZN2at6native25elementwise_kernel_helperILb0EZZZNS0_12_GLOBAL__N_130modified_bessel_i1_kernel_cudaERNS_18TensorIteratorBaseEENKUlvE_clEvENKUlvE_clEvEUldE_NS0_6memory8policies10vectorizedILi4ESt5arrayIPcLm2EELi4EEEEEvT0_T1_.has_dyn_sized_stack, 0
	.set .L_ZN2at6native25elementwise_kernel_helperILb0EZZZNS0_12_GLOBAL__N_130modified_bessel_i1_kernel_cudaERNS_18TensorIteratorBaseEENKUlvE_clEvENKUlvE_clEvEUldE_NS0_6memory8policies10vectorizedILi4ESt5arrayIPcLm2EELi4EEEEEvT0_T1_.has_recursion, 0
	.set .L_ZN2at6native25elementwise_kernel_helperILb0EZZZNS0_12_GLOBAL__N_130modified_bessel_i1_kernel_cudaERNS_18TensorIteratorBaseEENKUlvE_clEvENKUlvE_clEvEUldE_NS0_6memory8policies10vectorizedILi4ESt5arrayIPcLm2EELi4EEEEEvT0_T1_.has_indirect_call, 0
	.section	.AMDGPU.csdata,"",@progbits
; Function info:
; codeLenInByte = 12960
; TotalNumSgprs: 34
; NumVgprs: 32
; ScratchSize: 0
; MemoryBound: 0
	.section	.text._ZN2at6native29vectorized_elementwise_kernelILi16EZZZNS0_12_GLOBAL__N_130modified_bessel_i1_kernel_cudaERNS_18TensorIteratorBaseEENKUlvE_clEvENKUlvE_clEvEUldE_St5arrayIPcLm2EEEEviT0_T1_,"axG",@progbits,_ZN2at6native29vectorized_elementwise_kernelILi16EZZZNS0_12_GLOBAL__N_130modified_bessel_i1_kernel_cudaERNS_18TensorIteratorBaseEENKUlvE_clEvENKUlvE_clEvEUldE_St5arrayIPcLm2EEEEviT0_T1_,comdat
	.globl	_ZN2at6native29vectorized_elementwise_kernelILi16EZZZNS0_12_GLOBAL__N_130modified_bessel_i1_kernel_cudaERNS_18TensorIteratorBaseEENKUlvE_clEvENKUlvE_clEvEUldE_St5arrayIPcLm2EEEEviT0_T1_ ; -- Begin function _ZN2at6native29vectorized_elementwise_kernelILi16EZZZNS0_12_GLOBAL__N_130modified_bessel_i1_kernel_cudaERNS_18TensorIteratorBaseEENKUlvE_clEvENKUlvE_clEvEUldE_St5arrayIPcLm2EEEEviT0_T1_
	.p2align	8
	.type	_ZN2at6native29vectorized_elementwise_kernelILi16EZZZNS0_12_GLOBAL__N_130modified_bessel_i1_kernel_cudaERNS_18TensorIteratorBaseEENKUlvE_clEvENKUlvE_clEvEUldE_St5arrayIPcLm2EEEEviT0_T1_,@function
_ZN2at6native29vectorized_elementwise_kernelILi16EZZZNS0_12_GLOBAL__N_130modified_bessel_i1_kernel_cudaERNS_18TensorIteratorBaseEENKUlvE_clEvENKUlvE_clEvEUldE_St5arrayIPcLm2EEEEviT0_T1_: ; @_ZN2at6native29vectorized_elementwise_kernelILi16EZZZNS0_12_GLOBAL__N_130modified_bessel_i1_kernel_cudaERNS_18TensorIteratorBaseEENKUlvE_clEvENKUlvE_clEvEUldE_St5arrayIPcLm2EEEEviT0_T1_
; %bb.0:
	s_mov_b32 s12, s6
	s_clause 0x1
	s_load_dword s6, s[4:5], 0x0
	s_load_dwordx4 s[16:19], s[4:5], 0x8
	s_add_u32 s0, s0, s7
	s_addc_u32 s1, s1, 0
	s_lshl_b32 s4, s12, 10
	v_mov_b32_e32 v31, v0
	s_mov_b32 s32, 0
	s_waitcnt lgkmcnt(0)
	s_sub_i32 s13, s6, s4
	s_mov_b32 s4, -1
	s_cmpk_gt_i32 s13, 0x3ff
	s_cbranch_scc1 .LBB2_3
; %bb.1:
	s_andn2_b32 vcc_lo, exec_lo, s4
	s_cbranch_vccz .LBB2_4
.LBB2_2:
	s_endpgm
.LBB2_3:
	v_mov_b32_e32 v0, s16
	v_mov_b32_e32 v1, s17
	;; [unrolled: 1-line block ×4, first 2 shown]
	s_getpc_b64 s[4:5]
	s_add_u32 s4, s4, _ZN2at6native25elementwise_kernel_helperILb0EZZZNS0_12_GLOBAL__N_130modified_bessel_i1_kernel_cudaERNS_18TensorIteratorBaseEENKUlvE_clEvENKUlvE_clEvEUldE_NS0_6memory8policies10vectorizedILi4ESt5arrayIPcLm2EELi4EEEEEvT0_T1_@rel32@lo+4
	s_addc_u32 s5, s5, _ZN2at6native25elementwise_kernel_helperILb0EZZZNS0_12_GLOBAL__N_130modified_bessel_i1_kernel_cudaERNS_18TensorIteratorBaseEENKUlvE_clEvENKUlvE_clEvEUldE_NS0_6memory8policies10vectorizedILi4ESt5arrayIPcLm2EELi4EEEEEvT0_T1_@rel32@hi+12
	s_swappc_b64 s[30:31], s[4:5]
	s_cbranch_execnz .LBB2_2
.LBB2_4:
	v_mov_b32_e32 v0, s16
	v_mov_b32_e32 v1, s17
	;; [unrolled: 1-line block ×5, first 2 shown]
	s_getpc_b64 s[4:5]
	s_add_u32 s4, s4, _ZN2at6native25elementwise_kernel_helperILb0EZZZNS0_12_GLOBAL__N_130modified_bessel_i1_kernel_cudaERNS_18TensorIteratorBaseEENKUlvE_clEvENKUlvE_clEvEUldE_NS0_6memory8policies11unroll_baseILi256ESt5arrayIPcLm2EE23TrivialOffsetCalculatorILi1EjESF_NS8_15LoadWithoutCastENS8_16StoreWithoutCastELi4ELi1EEEEEvT0_T1_@rel32@lo+4
	s_addc_u32 s5, s5, _ZN2at6native25elementwise_kernel_helperILb0EZZZNS0_12_GLOBAL__N_130modified_bessel_i1_kernel_cudaERNS_18TensorIteratorBaseEENKUlvE_clEvENKUlvE_clEvEUldE_NS0_6memory8policies11unroll_baseILi256ESt5arrayIPcLm2EE23TrivialOffsetCalculatorILi1EjESF_NS8_15LoadWithoutCastENS8_16StoreWithoutCastELi4ELi1EEEEEvT0_T1_@rel32@hi+12
	s_swappc_b64 s[30:31], s[4:5]
	s_endpgm
	.section	.rodata,"a",@progbits
	.p2align	6, 0x0
	.amdhsa_kernel _ZN2at6native29vectorized_elementwise_kernelILi16EZZZNS0_12_GLOBAL__N_130modified_bessel_i1_kernel_cudaERNS_18TensorIteratorBaseEENKUlvE_clEvENKUlvE_clEvEUldE_St5arrayIPcLm2EEEEviT0_T1_
		.amdhsa_group_segment_fixed_size 0
		.amdhsa_private_segment_fixed_size 0
		.amdhsa_kernarg_size 24
		.amdhsa_user_sgpr_count 6
		.amdhsa_user_sgpr_private_segment_buffer 1
		.amdhsa_user_sgpr_dispatch_ptr 0
		.amdhsa_user_sgpr_queue_ptr 0
		.amdhsa_user_sgpr_kernarg_segment_ptr 1
		.amdhsa_user_sgpr_dispatch_id 0
		.amdhsa_user_sgpr_flat_scratch_init 0
		.amdhsa_user_sgpr_private_segment_size 0
		.amdhsa_wavefront_size32 1
		.amdhsa_uses_dynamic_stack 0
		.amdhsa_system_sgpr_private_segment_wavefront_offset 0
		.amdhsa_system_sgpr_workgroup_id_x 1
		.amdhsa_system_sgpr_workgroup_id_y 0
		.amdhsa_system_sgpr_workgroup_id_z 0
		.amdhsa_system_sgpr_workgroup_info 0
		.amdhsa_system_vgpr_workitem_id 0
		.amdhsa_next_free_vgpr 32
		.amdhsa_next_free_sgpr 33
		.amdhsa_reserve_vcc 1
		.amdhsa_reserve_flat_scratch 1
		.amdhsa_float_round_mode_32 0
		.amdhsa_float_round_mode_16_64 0
		.amdhsa_float_denorm_mode_32 3
		.amdhsa_float_denorm_mode_16_64 3
		.amdhsa_dx10_clamp 1
		.amdhsa_ieee_mode 1
		.amdhsa_fp16_overflow 0
		.amdhsa_workgroup_processor_mode 1
		.amdhsa_memory_ordered 1
		.amdhsa_forward_progress 1
		.amdhsa_shared_vgpr_count 0
		.amdhsa_exception_fp_ieee_invalid_op 0
		.amdhsa_exception_fp_denorm_src 0
		.amdhsa_exception_fp_ieee_div_zero 0
		.amdhsa_exception_fp_ieee_overflow 0
		.amdhsa_exception_fp_ieee_underflow 0
		.amdhsa_exception_fp_ieee_inexact 0
		.amdhsa_exception_int_div_zero 0
	.end_amdhsa_kernel
	.section	.text._ZN2at6native29vectorized_elementwise_kernelILi16EZZZNS0_12_GLOBAL__N_130modified_bessel_i1_kernel_cudaERNS_18TensorIteratorBaseEENKUlvE_clEvENKUlvE_clEvEUldE_St5arrayIPcLm2EEEEviT0_T1_,"axG",@progbits,_ZN2at6native29vectorized_elementwise_kernelILi16EZZZNS0_12_GLOBAL__N_130modified_bessel_i1_kernel_cudaERNS_18TensorIteratorBaseEENKUlvE_clEvENKUlvE_clEvEUldE_St5arrayIPcLm2EEEEviT0_T1_,comdat
.Lfunc_end2:
	.size	_ZN2at6native29vectorized_elementwise_kernelILi16EZZZNS0_12_GLOBAL__N_130modified_bessel_i1_kernel_cudaERNS_18TensorIteratorBaseEENKUlvE_clEvENKUlvE_clEvEUldE_St5arrayIPcLm2EEEEviT0_T1_, .Lfunc_end2-_ZN2at6native29vectorized_elementwise_kernelILi16EZZZNS0_12_GLOBAL__N_130modified_bessel_i1_kernel_cudaERNS_18TensorIteratorBaseEENKUlvE_clEvENKUlvE_clEvEUldE_St5arrayIPcLm2EEEEviT0_T1_
                                        ; -- End function
	.set _ZN2at6native29vectorized_elementwise_kernelILi16EZZZNS0_12_GLOBAL__N_130modified_bessel_i1_kernel_cudaERNS_18TensorIteratorBaseEENKUlvE_clEvENKUlvE_clEvEUldE_St5arrayIPcLm2EEEEviT0_T1_.num_vgpr, max(32, .L_ZN2at6native25elementwise_kernel_helperILb0EZZZNS0_12_GLOBAL__N_130modified_bessel_i1_kernel_cudaERNS_18TensorIteratorBaseEENKUlvE_clEvENKUlvE_clEvEUldE_NS0_6memory8policies10vectorizedILi4ESt5arrayIPcLm2EELi4EEEEEvT0_T1_.num_vgpr, .L_ZN2at6native25elementwise_kernel_helperILb0EZZZNS0_12_GLOBAL__N_130modified_bessel_i1_kernel_cudaERNS_18TensorIteratorBaseEENKUlvE_clEvENKUlvE_clEvEUldE_NS0_6memory8policies11unroll_baseILi256ESt5arrayIPcLm2EE23TrivialOffsetCalculatorILi1EjESF_NS8_15LoadWithoutCastENS8_16StoreWithoutCastELi4ELi1EEEEEvT0_T1_.num_vgpr)
	.set _ZN2at6native29vectorized_elementwise_kernelILi16EZZZNS0_12_GLOBAL__N_130modified_bessel_i1_kernel_cudaERNS_18TensorIteratorBaseEENKUlvE_clEvENKUlvE_clEvEUldE_St5arrayIPcLm2EEEEviT0_T1_.num_agpr, max(0, .L_ZN2at6native25elementwise_kernel_helperILb0EZZZNS0_12_GLOBAL__N_130modified_bessel_i1_kernel_cudaERNS_18TensorIteratorBaseEENKUlvE_clEvENKUlvE_clEvEUldE_NS0_6memory8policies10vectorizedILi4ESt5arrayIPcLm2EELi4EEEEEvT0_T1_.num_agpr, .L_ZN2at6native25elementwise_kernel_helperILb0EZZZNS0_12_GLOBAL__N_130modified_bessel_i1_kernel_cudaERNS_18TensorIteratorBaseEENKUlvE_clEvENKUlvE_clEvEUldE_NS0_6memory8policies11unroll_baseILi256ESt5arrayIPcLm2EE23TrivialOffsetCalculatorILi1EjESF_NS8_15LoadWithoutCastENS8_16StoreWithoutCastELi4ELi1EEEEEvT0_T1_.num_agpr)
	.set _ZN2at6native29vectorized_elementwise_kernelILi16EZZZNS0_12_GLOBAL__N_130modified_bessel_i1_kernel_cudaERNS_18TensorIteratorBaseEENKUlvE_clEvENKUlvE_clEvEUldE_St5arrayIPcLm2EEEEviT0_T1_.numbered_sgpr, max(33, .L_ZN2at6native25elementwise_kernel_helperILb0EZZZNS0_12_GLOBAL__N_130modified_bessel_i1_kernel_cudaERNS_18TensorIteratorBaseEENKUlvE_clEvENKUlvE_clEvEUldE_NS0_6memory8policies10vectorizedILi4ESt5arrayIPcLm2EELi4EEEEEvT0_T1_.numbered_sgpr, .L_ZN2at6native25elementwise_kernel_helperILb0EZZZNS0_12_GLOBAL__N_130modified_bessel_i1_kernel_cudaERNS_18TensorIteratorBaseEENKUlvE_clEvENKUlvE_clEvEUldE_NS0_6memory8policies11unroll_baseILi256ESt5arrayIPcLm2EE23TrivialOffsetCalculatorILi1EjESF_NS8_15LoadWithoutCastENS8_16StoreWithoutCastELi4ELi1EEEEEvT0_T1_.numbered_sgpr)
	.set _ZN2at6native29vectorized_elementwise_kernelILi16EZZZNS0_12_GLOBAL__N_130modified_bessel_i1_kernel_cudaERNS_18TensorIteratorBaseEENKUlvE_clEvENKUlvE_clEvEUldE_St5arrayIPcLm2EEEEviT0_T1_.num_named_barrier, max(0, .L_ZN2at6native25elementwise_kernel_helperILb0EZZZNS0_12_GLOBAL__N_130modified_bessel_i1_kernel_cudaERNS_18TensorIteratorBaseEENKUlvE_clEvENKUlvE_clEvEUldE_NS0_6memory8policies10vectorizedILi4ESt5arrayIPcLm2EELi4EEEEEvT0_T1_.num_named_barrier, .L_ZN2at6native25elementwise_kernel_helperILb0EZZZNS0_12_GLOBAL__N_130modified_bessel_i1_kernel_cudaERNS_18TensorIteratorBaseEENKUlvE_clEvENKUlvE_clEvEUldE_NS0_6memory8policies11unroll_baseILi256ESt5arrayIPcLm2EE23TrivialOffsetCalculatorILi1EjESF_NS8_15LoadWithoutCastENS8_16StoreWithoutCastELi4ELi1EEEEEvT0_T1_.num_named_barrier)
	.set _ZN2at6native29vectorized_elementwise_kernelILi16EZZZNS0_12_GLOBAL__N_130modified_bessel_i1_kernel_cudaERNS_18TensorIteratorBaseEENKUlvE_clEvENKUlvE_clEvEUldE_St5arrayIPcLm2EEEEviT0_T1_.private_seg_size, 0+max(.L_ZN2at6native25elementwise_kernel_helperILb0EZZZNS0_12_GLOBAL__N_130modified_bessel_i1_kernel_cudaERNS_18TensorIteratorBaseEENKUlvE_clEvENKUlvE_clEvEUldE_NS0_6memory8policies10vectorizedILi4ESt5arrayIPcLm2EELi4EEEEEvT0_T1_.private_seg_size, .L_ZN2at6native25elementwise_kernel_helperILb0EZZZNS0_12_GLOBAL__N_130modified_bessel_i1_kernel_cudaERNS_18TensorIteratorBaseEENKUlvE_clEvENKUlvE_clEvEUldE_NS0_6memory8policies11unroll_baseILi256ESt5arrayIPcLm2EE23TrivialOffsetCalculatorILi1EjESF_NS8_15LoadWithoutCastENS8_16StoreWithoutCastELi4ELi1EEEEEvT0_T1_.private_seg_size)
	.set _ZN2at6native29vectorized_elementwise_kernelILi16EZZZNS0_12_GLOBAL__N_130modified_bessel_i1_kernel_cudaERNS_18TensorIteratorBaseEENKUlvE_clEvENKUlvE_clEvEUldE_St5arrayIPcLm2EEEEviT0_T1_.uses_vcc, or(1, .L_ZN2at6native25elementwise_kernel_helperILb0EZZZNS0_12_GLOBAL__N_130modified_bessel_i1_kernel_cudaERNS_18TensorIteratorBaseEENKUlvE_clEvENKUlvE_clEvEUldE_NS0_6memory8policies10vectorizedILi4ESt5arrayIPcLm2EELi4EEEEEvT0_T1_.uses_vcc, .L_ZN2at6native25elementwise_kernel_helperILb0EZZZNS0_12_GLOBAL__N_130modified_bessel_i1_kernel_cudaERNS_18TensorIteratorBaseEENKUlvE_clEvENKUlvE_clEvEUldE_NS0_6memory8policies11unroll_baseILi256ESt5arrayIPcLm2EE23TrivialOffsetCalculatorILi1EjESF_NS8_15LoadWithoutCastENS8_16StoreWithoutCastELi4ELi1EEEEEvT0_T1_.uses_vcc)
	.set _ZN2at6native29vectorized_elementwise_kernelILi16EZZZNS0_12_GLOBAL__N_130modified_bessel_i1_kernel_cudaERNS_18TensorIteratorBaseEENKUlvE_clEvENKUlvE_clEvEUldE_St5arrayIPcLm2EEEEviT0_T1_.uses_flat_scratch, or(0, .L_ZN2at6native25elementwise_kernel_helperILb0EZZZNS0_12_GLOBAL__N_130modified_bessel_i1_kernel_cudaERNS_18TensorIteratorBaseEENKUlvE_clEvENKUlvE_clEvEUldE_NS0_6memory8policies10vectorizedILi4ESt5arrayIPcLm2EELi4EEEEEvT0_T1_.uses_flat_scratch, .L_ZN2at6native25elementwise_kernel_helperILb0EZZZNS0_12_GLOBAL__N_130modified_bessel_i1_kernel_cudaERNS_18TensorIteratorBaseEENKUlvE_clEvENKUlvE_clEvEUldE_NS0_6memory8policies11unroll_baseILi256ESt5arrayIPcLm2EE23TrivialOffsetCalculatorILi1EjESF_NS8_15LoadWithoutCastENS8_16StoreWithoutCastELi4ELi1EEEEEvT0_T1_.uses_flat_scratch)
	.set _ZN2at6native29vectorized_elementwise_kernelILi16EZZZNS0_12_GLOBAL__N_130modified_bessel_i1_kernel_cudaERNS_18TensorIteratorBaseEENKUlvE_clEvENKUlvE_clEvEUldE_St5arrayIPcLm2EEEEviT0_T1_.has_dyn_sized_stack, or(0, .L_ZN2at6native25elementwise_kernel_helperILb0EZZZNS0_12_GLOBAL__N_130modified_bessel_i1_kernel_cudaERNS_18TensorIteratorBaseEENKUlvE_clEvENKUlvE_clEvEUldE_NS0_6memory8policies10vectorizedILi4ESt5arrayIPcLm2EELi4EEEEEvT0_T1_.has_dyn_sized_stack, .L_ZN2at6native25elementwise_kernel_helperILb0EZZZNS0_12_GLOBAL__N_130modified_bessel_i1_kernel_cudaERNS_18TensorIteratorBaseEENKUlvE_clEvENKUlvE_clEvEUldE_NS0_6memory8policies11unroll_baseILi256ESt5arrayIPcLm2EE23TrivialOffsetCalculatorILi1EjESF_NS8_15LoadWithoutCastENS8_16StoreWithoutCastELi4ELi1EEEEEvT0_T1_.has_dyn_sized_stack)
	.set _ZN2at6native29vectorized_elementwise_kernelILi16EZZZNS0_12_GLOBAL__N_130modified_bessel_i1_kernel_cudaERNS_18TensorIteratorBaseEENKUlvE_clEvENKUlvE_clEvEUldE_St5arrayIPcLm2EEEEviT0_T1_.has_recursion, or(0, .L_ZN2at6native25elementwise_kernel_helperILb0EZZZNS0_12_GLOBAL__N_130modified_bessel_i1_kernel_cudaERNS_18TensorIteratorBaseEENKUlvE_clEvENKUlvE_clEvEUldE_NS0_6memory8policies10vectorizedILi4ESt5arrayIPcLm2EELi4EEEEEvT0_T1_.has_recursion, .L_ZN2at6native25elementwise_kernel_helperILb0EZZZNS0_12_GLOBAL__N_130modified_bessel_i1_kernel_cudaERNS_18TensorIteratorBaseEENKUlvE_clEvENKUlvE_clEvEUldE_NS0_6memory8policies11unroll_baseILi256ESt5arrayIPcLm2EE23TrivialOffsetCalculatorILi1EjESF_NS8_15LoadWithoutCastENS8_16StoreWithoutCastELi4ELi1EEEEEvT0_T1_.has_recursion)
	.set _ZN2at6native29vectorized_elementwise_kernelILi16EZZZNS0_12_GLOBAL__N_130modified_bessel_i1_kernel_cudaERNS_18TensorIteratorBaseEENKUlvE_clEvENKUlvE_clEvEUldE_St5arrayIPcLm2EEEEviT0_T1_.has_indirect_call, or(0, .L_ZN2at6native25elementwise_kernel_helperILb0EZZZNS0_12_GLOBAL__N_130modified_bessel_i1_kernel_cudaERNS_18TensorIteratorBaseEENKUlvE_clEvENKUlvE_clEvEUldE_NS0_6memory8policies10vectorizedILi4ESt5arrayIPcLm2EELi4EEEEEvT0_T1_.has_indirect_call, .L_ZN2at6native25elementwise_kernel_helperILb0EZZZNS0_12_GLOBAL__N_130modified_bessel_i1_kernel_cudaERNS_18TensorIteratorBaseEENKUlvE_clEvENKUlvE_clEvEUldE_NS0_6memory8policies11unroll_baseILi256ESt5arrayIPcLm2EE23TrivialOffsetCalculatorILi1EjESF_NS8_15LoadWithoutCastENS8_16StoreWithoutCastELi4ELi1EEEEEvT0_T1_.has_indirect_call)
	.section	.AMDGPU.csdata,"",@progbits
; Kernel info:
; codeLenInByte = 168
; TotalNumSgprs: 35
; NumVgprs: 32
; ScratchSize: 0
; MemoryBound: 0
; FloatMode: 240
; IeeeMode: 1
; LDSByteSize: 0 bytes/workgroup (compile time only)
; SGPRBlocks: 0
; VGPRBlocks: 3
; NumSGPRsForWavesPerEU: 35
; NumVGPRsForWavesPerEU: 32
; Occupancy: 16
; WaveLimiterHint : 0
; COMPUTE_PGM_RSRC2:SCRATCH_EN: 0
; COMPUTE_PGM_RSRC2:USER_SGPR: 6
; COMPUTE_PGM_RSRC2:TRAP_HANDLER: 0
; COMPUTE_PGM_RSRC2:TGID_X_EN: 1
; COMPUTE_PGM_RSRC2:TGID_Y_EN: 0
; COMPUTE_PGM_RSRC2:TGID_Z_EN: 0
; COMPUTE_PGM_RSRC2:TIDIG_COMP_CNT: 0
	.section	.text._ZN2at6native29vectorized_elementwise_kernelILi8EZZZNS0_12_GLOBAL__N_130modified_bessel_i1_kernel_cudaERNS_18TensorIteratorBaseEENKUlvE_clEvENKUlvE_clEvEUldE_St5arrayIPcLm2EEEEviT0_T1_,"axG",@progbits,_ZN2at6native29vectorized_elementwise_kernelILi8EZZZNS0_12_GLOBAL__N_130modified_bessel_i1_kernel_cudaERNS_18TensorIteratorBaseEENKUlvE_clEvENKUlvE_clEvEUldE_St5arrayIPcLm2EEEEviT0_T1_,comdat
	.globl	_ZN2at6native29vectorized_elementwise_kernelILi8EZZZNS0_12_GLOBAL__N_130modified_bessel_i1_kernel_cudaERNS_18TensorIteratorBaseEENKUlvE_clEvENKUlvE_clEvEUldE_St5arrayIPcLm2EEEEviT0_T1_ ; -- Begin function _ZN2at6native29vectorized_elementwise_kernelILi8EZZZNS0_12_GLOBAL__N_130modified_bessel_i1_kernel_cudaERNS_18TensorIteratorBaseEENKUlvE_clEvENKUlvE_clEvEUldE_St5arrayIPcLm2EEEEviT0_T1_
	.p2align	8
	.type	_ZN2at6native29vectorized_elementwise_kernelILi8EZZZNS0_12_GLOBAL__N_130modified_bessel_i1_kernel_cudaERNS_18TensorIteratorBaseEENKUlvE_clEvENKUlvE_clEvEUldE_St5arrayIPcLm2EEEEviT0_T1_,@function
_ZN2at6native29vectorized_elementwise_kernelILi8EZZZNS0_12_GLOBAL__N_130modified_bessel_i1_kernel_cudaERNS_18TensorIteratorBaseEENKUlvE_clEvENKUlvE_clEvEUldE_St5arrayIPcLm2EEEEviT0_T1_: ; @_ZN2at6native29vectorized_elementwise_kernelILi8EZZZNS0_12_GLOBAL__N_130modified_bessel_i1_kernel_cudaERNS_18TensorIteratorBaseEENKUlvE_clEvENKUlvE_clEvEUldE_St5arrayIPcLm2EEEEviT0_T1_
; %bb.0:
	s_mov_b32 s12, s6
	s_clause 0x1
	s_load_dword s6, s[4:5], 0x0
	s_load_dwordx4 s[16:19], s[4:5], 0x8
	s_add_u32 s0, s0, s7
	s_addc_u32 s1, s1, 0
	s_lshl_b32 s4, s12, 10
	v_mov_b32_e32 v31, v0
	s_mov_b32 s32, 0
	s_waitcnt lgkmcnt(0)
	s_sub_i32 s13, s6, s4
	s_mov_b32 s4, -1
	s_cmpk_gt_i32 s13, 0x3ff
	s_cbranch_scc1 .LBB3_3
; %bb.1:
	s_andn2_b32 vcc_lo, exec_lo, s4
	s_cbranch_vccz .LBB3_4
.LBB3_2:
	s_endpgm
.LBB3_3:
	v_mov_b32_e32 v0, s16
	v_mov_b32_e32 v1, s17
	v_mov_b32_e32 v2, s18
	v_mov_b32_e32 v3, s19
	s_getpc_b64 s[4:5]
	s_add_u32 s4, s4, _ZN2at6native25elementwise_kernel_helperILb0EZZZNS0_12_GLOBAL__N_130modified_bessel_i1_kernel_cudaERNS_18TensorIteratorBaseEENKUlvE_clEvENKUlvE_clEvEUldE_NS0_6memory8policies10vectorizedILi4ESt5arrayIPcLm2EELi4EEEEEvT0_T1_@rel32@lo+4
	s_addc_u32 s5, s5, _ZN2at6native25elementwise_kernel_helperILb0EZZZNS0_12_GLOBAL__N_130modified_bessel_i1_kernel_cudaERNS_18TensorIteratorBaseEENKUlvE_clEvENKUlvE_clEvEUldE_NS0_6memory8policies10vectorizedILi4ESt5arrayIPcLm2EELi4EEEEEvT0_T1_@rel32@hi+12
	s_swappc_b64 s[30:31], s[4:5]
	s_cbranch_execnz .LBB3_2
.LBB3_4:
	v_mov_b32_e32 v0, s16
	v_mov_b32_e32 v1, s17
	;; [unrolled: 1-line block ×5, first 2 shown]
	s_getpc_b64 s[4:5]
	s_add_u32 s4, s4, _ZN2at6native25elementwise_kernel_helperILb0EZZZNS0_12_GLOBAL__N_130modified_bessel_i1_kernel_cudaERNS_18TensorIteratorBaseEENKUlvE_clEvENKUlvE_clEvEUldE_NS0_6memory8policies11unroll_baseILi256ESt5arrayIPcLm2EE23TrivialOffsetCalculatorILi1EjESF_NS8_15LoadWithoutCastENS8_16StoreWithoutCastELi4ELi1EEEEEvT0_T1_@rel32@lo+4
	s_addc_u32 s5, s5, _ZN2at6native25elementwise_kernel_helperILb0EZZZNS0_12_GLOBAL__N_130modified_bessel_i1_kernel_cudaERNS_18TensorIteratorBaseEENKUlvE_clEvENKUlvE_clEvEUldE_NS0_6memory8policies11unroll_baseILi256ESt5arrayIPcLm2EE23TrivialOffsetCalculatorILi1EjESF_NS8_15LoadWithoutCastENS8_16StoreWithoutCastELi4ELi1EEEEEvT0_T1_@rel32@hi+12
	s_swappc_b64 s[30:31], s[4:5]
	s_endpgm
	.section	.rodata,"a",@progbits
	.p2align	6, 0x0
	.amdhsa_kernel _ZN2at6native29vectorized_elementwise_kernelILi8EZZZNS0_12_GLOBAL__N_130modified_bessel_i1_kernel_cudaERNS_18TensorIteratorBaseEENKUlvE_clEvENKUlvE_clEvEUldE_St5arrayIPcLm2EEEEviT0_T1_
		.amdhsa_group_segment_fixed_size 0
		.amdhsa_private_segment_fixed_size 0
		.amdhsa_kernarg_size 24
		.amdhsa_user_sgpr_count 6
		.amdhsa_user_sgpr_private_segment_buffer 1
		.amdhsa_user_sgpr_dispatch_ptr 0
		.amdhsa_user_sgpr_queue_ptr 0
		.amdhsa_user_sgpr_kernarg_segment_ptr 1
		.amdhsa_user_sgpr_dispatch_id 0
		.amdhsa_user_sgpr_flat_scratch_init 0
		.amdhsa_user_sgpr_private_segment_size 0
		.amdhsa_wavefront_size32 1
		.amdhsa_uses_dynamic_stack 0
		.amdhsa_system_sgpr_private_segment_wavefront_offset 0
		.amdhsa_system_sgpr_workgroup_id_x 1
		.amdhsa_system_sgpr_workgroup_id_y 0
		.amdhsa_system_sgpr_workgroup_id_z 0
		.amdhsa_system_sgpr_workgroup_info 0
		.amdhsa_system_vgpr_workitem_id 0
		.amdhsa_next_free_vgpr 32
		.amdhsa_next_free_sgpr 33
		.amdhsa_reserve_vcc 1
		.amdhsa_reserve_flat_scratch 1
		.amdhsa_float_round_mode_32 0
		.amdhsa_float_round_mode_16_64 0
		.amdhsa_float_denorm_mode_32 3
		.amdhsa_float_denorm_mode_16_64 3
		.amdhsa_dx10_clamp 1
		.amdhsa_ieee_mode 1
		.amdhsa_fp16_overflow 0
		.amdhsa_workgroup_processor_mode 1
		.amdhsa_memory_ordered 1
		.amdhsa_forward_progress 1
		.amdhsa_shared_vgpr_count 0
		.amdhsa_exception_fp_ieee_invalid_op 0
		.amdhsa_exception_fp_denorm_src 0
		.amdhsa_exception_fp_ieee_div_zero 0
		.amdhsa_exception_fp_ieee_overflow 0
		.amdhsa_exception_fp_ieee_underflow 0
		.amdhsa_exception_fp_ieee_inexact 0
		.amdhsa_exception_int_div_zero 0
	.end_amdhsa_kernel
	.section	.text._ZN2at6native29vectorized_elementwise_kernelILi8EZZZNS0_12_GLOBAL__N_130modified_bessel_i1_kernel_cudaERNS_18TensorIteratorBaseEENKUlvE_clEvENKUlvE_clEvEUldE_St5arrayIPcLm2EEEEviT0_T1_,"axG",@progbits,_ZN2at6native29vectorized_elementwise_kernelILi8EZZZNS0_12_GLOBAL__N_130modified_bessel_i1_kernel_cudaERNS_18TensorIteratorBaseEENKUlvE_clEvENKUlvE_clEvEUldE_St5arrayIPcLm2EEEEviT0_T1_,comdat
.Lfunc_end3:
	.size	_ZN2at6native29vectorized_elementwise_kernelILi8EZZZNS0_12_GLOBAL__N_130modified_bessel_i1_kernel_cudaERNS_18TensorIteratorBaseEENKUlvE_clEvENKUlvE_clEvEUldE_St5arrayIPcLm2EEEEviT0_T1_, .Lfunc_end3-_ZN2at6native29vectorized_elementwise_kernelILi8EZZZNS0_12_GLOBAL__N_130modified_bessel_i1_kernel_cudaERNS_18TensorIteratorBaseEENKUlvE_clEvENKUlvE_clEvEUldE_St5arrayIPcLm2EEEEviT0_T1_
                                        ; -- End function
	.set _ZN2at6native29vectorized_elementwise_kernelILi8EZZZNS0_12_GLOBAL__N_130modified_bessel_i1_kernel_cudaERNS_18TensorIteratorBaseEENKUlvE_clEvENKUlvE_clEvEUldE_St5arrayIPcLm2EEEEviT0_T1_.num_vgpr, max(32, .L_ZN2at6native25elementwise_kernel_helperILb0EZZZNS0_12_GLOBAL__N_130modified_bessel_i1_kernel_cudaERNS_18TensorIteratorBaseEENKUlvE_clEvENKUlvE_clEvEUldE_NS0_6memory8policies10vectorizedILi4ESt5arrayIPcLm2EELi4EEEEEvT0_T1_.num_vgpr, .L_ZN2at6native25elementwise_kernel_helperILb0EZZZNS0_12_GLOBAL__N_130modified_bessel_i1_kernel_cudaERNS_18TensorIteratorBaseEENKUlvE_clEvENKUlvE_clEvEUldE_NS0_6memory8policies11unroll_baseILi256ESt5arrayIPcLm2EE23TrivialOffsetCalculatorILi1EjESF_NS8_15LoadWithoutCastENS8_16StoreWithoutCastELi4ELi1EEEEEvT0_T1_.num_vgpr)
	.set _ZN2at6native29vectorized_elementwise_kernelILi8EZZZNS0_12_GLOBAL__N_130modified_bessel_i1_kernel_cudaERNS_18TensorIteratorBaseEENKUlvE_clEvENKUlvE_clEvEUldE_St5arrayIPcLm2EEEEviT0_T1_.num_agpr, max(0, .L_ZN2at6native25elementwise_kernel_helperILb0EZZZNS0_12_GLOBAL__N_130modified_bessel_i1_kernel_cudaERNS_18TensorIteratorBaseEENKUlvE_clEvENKUlvE_clEvEUldE_NS0_6memory8policies10vectorizedILi4ESt5arrayIPcLm2EELi4EEEEEvT0_T1_.num_agpr, .L_ZN2at6native25elementwise_kernel_helperILb0EZZZNS0_12_GLOBAL__N_130modified_bessel_i1_kernel_cudaERNS_18TensorIteratorBaseEENKUlvE_clEvENKUlvE_clEvEUldE_NS0_6memory8policies11unroll_baseILi256ESt5arrayIPcLm2EE23TrivialOffsetCalculatorILi1EjESF_NS8_15LoadWithoutCastENS8_16StoreWithoutCastELi4ELi1EEEEEvT0_T1_.num_agpr)
	.set _ZN2at6native29vectorized_elementwise_kernelILi8EZZZNS0_12_GLOBAL__N_130modified_bessel_i1_kernel_cudaERNS_18TensorIteratorBaseEENKUlvE_clEvENKUlvE_clEvEUldE_St5arrayIPcLm2EEEEviT0_T1_.numbered_sgpr, max(33, .L_ZN2at6native25elementwise_kernel_helperILb0EZZZNS0_12_GLOBAL__N_130modified_bessel_i1_kernel_cudaERNS_18TensorIteratorBaseEENKUlvE_clEvENKUlvE_clEvEUldE_NS0_6memory8policies10vectorizedILi4ESt5arrayIPcLm2EELi4EEEEEvT0_T1_.numbered_sgpr, .L_ZN2at6native25elementwise_kernel_helperILb0EZZZNS0_12_GLOBAL__N_130modified_bessel_i1_kernel_cudaERNS_18TensorIteratorBaseEENKUlvE_clEvENKUlvE_clEvEUldE_NS0_6memory8policies11unroll_baseILi256ESt5arrayIPcLm2EE23TrivialOffsetCalculatorILi1EjESF_NS8_15LoadWithoutCastENS8_16StoreWithoutCastELi4ELi1EEEEEvT0_T1_.numbered_sgpr)
	.set _ZN2at6native29vectorized_elementwise_kernelILi8EZZZNS0_12_GLOBAL__N_130modified_bessel_i1_kernel_cudaERNS_18TensorIteratorBaseEENKUlvE_clEvENKUlvE_clEvEUldE_St5arrayIPcLm2EEEEviT0_T1_.num_named_barrier, max(0, .L_ZN2at6native25elementwise_kernel_helperILb0EZZZNS0_12_GLOBAL__N_130modified_bessel_i1_kernel_cudaERNS_18TensorIteratorBaseEENKUlvE_clEvENKUlvE_clEvEUldE_NS0_6memory8policies10vectorizedILi4ESt5arrayIPcLm2EELi4EEEEEvT0_T1_.num_named_barrier, .L_ZN2at6native25elementwise_kernel_helperILb0EZZZNS0_12_GLOBAL__N_130modified_bessel_i1_kernel_cudaERNS_18TensorIteratorBaseEENKUlvE_clEvENKUlvE_clEvEUldE_NS0_6memory8policies11unroll_baseILi256ESt5arrayIPcLm2EE23TrivialOffsetCalculatorILi1EjESF_NS8_15LoadWithoutCastENS8_16StoreWithoutCastELi4ELi1EEEEEvT0_T1_.num_named_barrier)
	.set _ZN2at6native29vectorized_elementwise_kernelILi8EZZZNS0_12_GLOBAL__N_130modified_bessel_i1_kernel_cudaERNS_18TensorIteratorBaseEENKUlvE_clEvENKUlvE_clEvEUldE_St5arrayIPcLm2EEEEviT0_T1_.private_seg_size, 0+max(.L_ZN2at6native25elementwise_kernel_helperILb0EZZZNS0_12_GLOBAL__N_130modified_bessel_i1_kernel_cudaERNS_18TensorIteratorBaseEENKUlvE_clEvENKUlvE_clEvEUldE_NS0_6memory8policies10vectorizedILi4ESt5arrayIPcLm2EELi4EEEEEvT0_T1_.private_seg_size, .L_ZN2at6native25elementwise_kernel_helperILb0EZZZNS0_12_GLOBAL__N_130modified_bessel_i1_kernel_cudaERNS_18TensorIteratorBaseEENKUlvE_clEvENKUlvE_clEvEUldE_NS0_6memory8policies11unroll_baseILi256ESt5arrayIPcLm2EE23TrivialOffsetCalculatorILi1EjESF_NS8_15LoadWithoutCastENS8_16StoreWithoutCastELi4ELi1EEEEEvT0_T1_.private_seg_size)
	.set _ZN2at6native29vectorized_elementwise_kernelILi8EZZZNS0_12_GLOBAL__N_130modified_bessel_i1_kernel_cudaERNS_18TensorIteratorBaseEENKUlvE_clEvENKUlvE_clEvEUldE_St5arrayIPcLm2EEEEviT0_T1_.uses_vcc, or(1, .L_ZN2at6native25elementwise_kernel_helperILb0EZZZNS0_12_GLOBAL__N_130modified_bessel_i1_kernel_cudaERNS_18TensorIteratorBaseEENKUlvE_clEvENKUlvE_clEvEUldE_NS0_6memory8policies10vectorizedILi4ESt5arrayIPcLm2EELi4EEEEEvT0_T1_.uses_vcc, .L_ZN2at6native25elementwise_kernel_helperILb0EZZZNS0_12_GLOBAL__N_130modified_bessel_i1_kernel_cudaERNS_18TensorIteratorBaseEENKUlvE_clEvENKUlvE_clEvEUldE_NS0_6memory8policies11unroll_baseILi256ESt5arrayIPcLm2EE23TrivialOffsetCalculatorILi1EjESF_NS8_15LoadWithoutCastENS8_16StoreWithoutCastELi4ELi1EEEEEvT0_T1_.uses_vcc)
	.set _ZN2at6native29vectorized_elementwise_kernelILi8EZZZNS0_12_GLOBAL__N_130modified_bessel_i1_kernel_cudaERNS_18TensorIteratorBaseEENKUlvE_clEvENKUlvE_clEvEUldE_St5arrayIPcLm2EEEEviT0_T1_.uses_flat_scratch, or(0, .L_ZN2at6native25elementwise_kernel_helperILb0EZZZNS0_12_GLOBAL__N_130modified_bessel_i1_kernel_cudaERNS_18TensorIteratorBaseEENKUlvE_clEvENKUlvE_clEvEUldE_NS0_6memory8policies10vectorizedILi4ESt5arrayIPcLm2EELi4EEEEEvT0_T1_.uses_flat_scratch, .L_ZN2at6native25elementwise_kernel_helperILb0EZZZNS0_12_GLOBAL__N_130modified_bessel_i1_kernel_cudaERNS_18TensorIteratorBaseEENKUlvE_clEvENKUlvE_clEvEUldE_NS0_6memory8policies11unroll_baseILi256ESt5arrayIPcLm2EE23TrivialOffsetCalculatorILi1EjESF_NS8_15LoadWithoutCastENS8_16StoreWithoutCastELi4ELi1EEEEEvT0_T1_.uses_flat_scratch)
	.set _ZN2at6native29vectorized_elementwise_kernelILi8EZZZNS0_12_GLOBAL__N_130modified_bessel_i1_kernel_cudaERNS_18TensorIteratorBaseEENKUlvE_clEvENKUlvE_clEvEUldE_St5arrayIPcLm2EEEEviT0_T1_.has_dyn_sized_stack, or(0, .L_ZN2at6native25elementwise_kernel_helperILb0EZZZNS0_12_GLOBAL__N_130modified_bessel_i1_kernel_cudaERNS_18TensorIteratorBaseEENKUlvE_clEvENKUlvE_clEvEUldE_NS0_6memory8policies10vectorizedILi4ESt5arrayIPcLm2EELi4EEEEEvT0_T1_.has_dyn_sized_stack, .L_ZN2at6native25elementwise_kernel_helperILb0EZZZNS0_12_GLOBAL__N_130modified_bessel_i1_kernel_cudaERNS_18TensorIteratorBaseEENKUlvE_clEvENKUlvE_clEvEUldE_NS0_6memory8policies11unroll_baseILi256ESt5arrayIPcLm2EE23TrivialOffsetCalculatorILi1EjESF_NS8_15LoadWithoutCastENS8_16StoreWithoutCastELi4ELi1EEEEEvT0_T1_.has_dyn_sized_stack)
	.set _ZN2at6native29vectorized_elementwise_kernelILi8EZZZNS0_12_GLOBAL__N_130modified_bessel_i1_kernel_cudaERNS_18TensorIteratorBaseEENKUlvE_clEvENKUlvE_clEvEUldE_St5arrayIPcLm2EEEEviT0_T1_.has_recursion, or(0, .L_ZN2at6native25elementwise_kernel_helperILb0EZZZNS0_12_GLOBAL__N_130modified_bessel_i1_kernel_cudaERNS_18TensorIteratorBaseEENKUlvE_clEvENKUlvE_clEvEUldE_NS0_6memory8policies10vectorizedILi4ESt5arrayIPcLm2EELi4EEEEEvT0_T1_.has_recursion, .L_ZN2at6native25elementwise_kernel_helperILb0EZZZNS0_12_GLOBAL__N_130modified_bessel_i1_kernel_cudaERNS_18TensorIteratorBaseEENKUlvE_clEvENKUlvE_clEvEUldE_NS0_6memory8policies11unroll_baseILi256ESt5arrayIPcLm2EE23TrivialOffsetCalculatorILi1EjESF_NS8_15LoadWithoutCastENS8_16StoreWithoutCastELi4ELi1EEEEEvT0_T1_.has_recursion)
	.set _ZN2at6native29vectorized_elementwise_kernelILi8EZZZNS0_12_GLOBAL__N_130modified_bessel_i1_kernel_cudaERNS_18TensorIteratorBaseEENKUlvE_clEvENKUlvE_clEvEUldE_St5arrayIPcLm2EEEEviT0_T1_.has_indirect_call, or(0, .L_ZN2at6native25elementwise_kernel_helperILb0EZZZNS0_12_GLOBAL__N_130modified_bessel_i1_kernel_cudaERNS_18TensorIteratorBaseEENKUlvE_clEvENKUlvE_clEvEUldE_NS0_6memory8policies10vectorizedILi4ESt5arrayIPcLm2EELi4EEEEEvT0_T1_.has_indirect_call, .L_ZN2at6native25elementwise_kernel_helperILb0EZZZNS0_12_GLOBAL__N_130modified_bessel_i1_kernel_cudaERNS_18TensorIteratorBaseEENKUlvE_clEvENKUlvE_clEvEUldE_NS0_6memory8policies11unroll_baseILi256ESt5arrayIPcLm2EE23TrivialOffsetCalculatorILi1EjESF_NS8_15LoadWithoutCastENS8_16StoreWithoutCastELi4ELi1EEEEEvT0_T1_.has_indirect_call)
	.section	.AMDGPU.csdata,"",@progbits
; Kernel info:
; codeLenInByte = 168
; TotalNumSgprs: 35
; NumVgprs: 32
; ScratchSize: 0
; MemoryBound: 0
; FloatMode: 240
; IeeeMode: 1
; LDSByteSize: 0 bytes/workgroup (compile time only)
; SGPRBlocks: 0
; VGPRBlocks: 3
; NumSGPRsForWavesPerEU: 35
; NumVGPRsForWavesPerEU: 32
; Occupancy: 16
; WaveLimiterHint : 0
; COMPUTE_PGM_RSRC2:SCRATCH_EN: 0
; COMPUTE_PGM_RSRC2:USER_SGPR: 6
; COMPUTE_PGM_RSRC2:TRAP_HANDLER: 0
; COMPUTE_PGM_RSRC2:TGID_X_EN: 1
; COMPUTE_PGM_RSRC2:TGID_Y_EN: 0
; COMPUTE_PGM_RSRC2:TGID_Z_EN: 0
; COMPUTE_PGM_RSRC2:TIDIG_COMP_CNT: 0
	.section	.text._ZN2at6native29vectorized_elementwise_kernelILi4EZZZNS0_12_GLOBAL__N_130modified_bessel_i1_kernel_cudaERNS_18TensorIteratorBaseEENKUlvE_clEvENKUlvE_clEvEUldE_St5arrayIPcLm2EEEEviT0_T1_,"axG",@progbits,_ZN2at6native29vectorized_elementwise_kernelILi4EZZZNS0_12_GLOBAL__N_130modified_bessel_i1_kernel_cudaERNS_18TensorIteratorBaseEENKUlvE_clEvENKUlvE_clEvEUldE_St5arrayIPcLm2EEEEviT0_T1_,comdat
	.globl	_ZN2at6native29vectorized_elementwise_kernelILi4EZZZNS0_12_GLOBAL__N_130modified_bessel_i1_kernel_cudaERNS_18TensorIteratorBaseEENKUlvE_clEvENKUlvE_clEvEUldE_St5arrayIPcLm2EEEEviT0_T1_ ; -- Begin function _ZN2at6native29vectorized_elementwise_kernelILi4EZZZNS0_12_GLOBAL__N_130modified_bessel_i1_kernel_cudaERNS_18TensorIteratorBaseEENKUlvE_clEvENKUlvE_clEvEUldE_St5arrayIPcLm2EEEEviT0_T1_
	.p2align	8
	.type	_ZN2at6native29vectorized_elementwise_kernelILi4EZZZNS0_12_GLOBAL__N_130modified_bessel_i1_kernel_cudaERNS_18TensorIteratorBaseEENKUlvE_clEvENKUlvE_clEvEUldE_St5arrayIPcLm2EEEEviT0_T1_,@function
_ZN2at6native29vectorized_elementwise_kernelILi4EZZZNS0_12_GLOBAL__N_130modified_bessel_i1_kernel_cudaERNS_18TensorIteratorBaseEENKUlvE_clEvENKUlvE_clEvEUldE_St5arrayIPcLm2EEEEviT0_T1_: ; @_ZN2at6native29vectorized_elementwise_kernelILi4EZZZNS0_12_GLOBAL__N_130modified_bessel_i1_kernel_cudaERNS_18TensorIteratorBaseEENKUlvE_clEvENKUlvE_clEvEUldE_St5arrayIPcLm2EEEEviT0_T1_
; %bb.0:
	s_mov_b32 s12, s6
	s_clause 0x1
	s_load_dword s6, s[4:5], 0x0
	s_load_dwordx4 s[16:19], s[4:5], 0x8
	s_add_u32 s0, s0, s7
	s_addc_u32 s1, s1, 0
	s_lshl_b32 s4, s12, 10
	v_mov_b32_e32 v31, v0
	s_mov_b32 s32, 0
	s_waitcnt lgkmcnt(0)
	s_sub_i32 s13, s6, s4
	s_mov_b32 s4, -1
	s_cmpk_gt_i32 s13, 0x3ff
	s_cbranch_scc1 .LBB4_3
; %bb.1:
	s_andn2_b32 vcc_lo, exec_lo, s4
	s_cbranch_vccz .LBB4_4
.LBB4_2:
	s_endpgm
.LBB4_3:
	v_mov_b32_e32 v0, s16
	v_mov_b32_e32 v1, s17
	;; [unrolled: 1-line block ×4, first 2 shown]
	s_getpc_b64 s[4:5]
	s_add_u32 s4, s4, _ZN2at6native25elementwise_kernel_helperILb0EZZZNS0_12_GLOBAL__N_130modified_bessel_i1_kernel_cudaERNS_18TensorIteratorBaseEENKUlvE_clEvENKUlvE_clEvEUldE_NS0_6memory8policies10vectorizedILi4ESt5arrayIPcLm2EELi4EEEEEvT0_T1_@rel32@lo+4
	s_addc_u32 s5, s5, _ZN2at6native25elementwise_kernel_helperILb0EZZZNS0_12_GLOBAL__N_130modified_bessel_i1_kernel_cudaERNS_18TensorIteratorBaseEENKUlvE_clEvENKUlvE_clEvEUldE_NS0_6memory8policies10vectorizedILi4ESt5arrayIPcLm2EELi4EEEEEvT0_T1_@rel32@hi+12
	s_swappc_b64 s[30:31], s[4:5]
	s_cbranch_execnz .LBB4_2
.LBB4_4:
	v_mov_b32_e32 v0, s16
	v_mov_b32_e32 v1, s17
	;; [unrolled: 1-line block ×5, first 2 shown]
	s_getpc_b64 s[4:5]
	s_add_u32 s4, s4, _ZN2at6native25elementwise_kernel_helperILb0EZZZNS0_12_GLOBAL__N_130modified_bessel_i1_kernel_cudaERNS_18TensorIteratorBaseEENKUlvE_clEvENKUlvE_clEvEUldE_NS0_6memory8policies11unroll_baseILi256ESt5arrayIPcLm2EE23TrivialOffsetCalculatorILi1EjESF_NS8_15LoadWithoutCastENS8_16StoreWithoutCastELi4ELi1EEEEEvT0_T1_@rel32@lo+4
	s_addc_u32 s5, s5, _ZN2at6native25elementwise_kernel_helperILb0EZZZNS0_12_GLOBAL__N_130modified_bessel_i1_kernel_cudaERNS_18TensorIteratorBaseEENKUlvE_clEvENKUlvE_clEvEUldE_NS0_6memory8policies11unroll_baseILi256ESt5arrayIPcLm2EE23TrivialOffsetCalculatorILi1EjESF_NS8_15LoadWithoutCastENS8_16StoreWithoutCastELi4ELi1EEEEEvT0_T1_@rel32@hi+12
	s_swappc_b64 s[30:31], s[4:5]
	s_endpgm
	.section	.rodata,"a",@progbits
	.p2align	6, 0x0
	.amdhsa_kernel _ZN2at6native29vectorized_elementwise_kernelILi4EZZZNS0_12_GLOBAL__N_130modified_bessel_i1_kernel_cudaERNS_18TensorIteratorBaseEENKUlvE_clEvENKUlvE_clEvEUldE_St5arrayIPcLm2EEEEviT0_T1_
		.amdhsa_group_segment_fixed_size 0
		.amdhsa_private_segment_fixed_size 0
		.amdhsa_kernarg_size 24
		.amdhsa_user_sgpr_count 6
		.amdhsa_user_sgpr_private_segment_buffer 1
		.amdhsa_user_sgpr_dispatch_ptr 0
		.amdhsa_user_sgpr_queue_ptr 0
		.amdhsa_user_sgpr_kernarg_segment_ptr 1
		.amdhsa_user_sgpr_dispatch_id 0
		.amdhsa_user_sgpr_flat_scratch_init 0
		.amdhsa_user_sgpr_private_segment_size 0
		.amdhsa_wavefront_size32 1
		.amdhsa_uses_dynamic_stack 0
		.amdhsa_system_sgpr_private_segment_wavefront_offset 0
		.amdhsa_system_sgpr_workgroup_id_x 1
		.amdhsa_system_sgpr_workgroup_id_y 0
		.amdhsa_system_sgpr_workgroup_id_z 0
		.amdhsa_system_sgpr_workgroup_info 0
		.amdhsa_system_vgpr_workitem_id 0
		.amdhsa_next_free_vgpr 32
		.amdhsa_next_free_sgpr 33
		.amdhsa_reserve_vcc 1
		.amdhsa_reserve_flat_scratch 1
		.amdhsa_float_round_mode_32 0
		.amdhsa_float_round_mode_16_64 0
		.amdhsa_float_denorm_mode_32 3
		.amdhsa_float_denorm_mode_16_64 3
		.amdhsa_dx10_clamp 1
		.amdhsa_ieee_mode 1
		.amdhsa_fp16_overflow 0
		.amdhsa_workgroup_processor_mode 1
		.amdhsa_memory_ordered 1
		.amdhsa_forward_progress 1
		.amdhsa_shared_vgpr_count 0
		.amdhsa_exception_fp_ieee_invalid_op 0
		.amdhsa_exception_fp_denorm_src 0
		.amdhsa_exception_fp_ieee_div_zero 0
		.amdhsa_exception_fp_ieee_overflow 0
		.amdhsa_exception_fp_ieee_underflow 0
		.amdhsa_exception_fp_ieee_inexact 0
		.amdhsa_exception_int_div_zero 0
	.end_amdhsa_kernel
	.section	.text._ZN2at6native29vectorized_elementwise_kernelILi4EZZZNS0_12_GLOBAL__N_130modified_bessel_i1_kernel_cudaERNS_18TensorIteratorBaseEENKUlvE_clEvENKUlvE_clEvEUldE_St5arrayIPcLm2EEEEviT0_T1_,"axG",@progbits,_ZN2at6native29vectorized_elementwise_kernelILi4EZZZNS0_12_GLOBAL__N_130modified_bessel_i1_kernel_cudaERNS_18TensorIteratorBaseEENKUlvE_clEvENKUlvE_clEvEUldE_St5arrayIPcLm2EEEEviT0_T1_,comdat
.Lfunc_end4:
	.size	_ZN2at6native29vectorized_elementwise_kernelILi4EZZZNS0_12_GLOBAL__N_130modified_bessel_i1_kernel_cudaERNS_18TensorIteratorBaseEENKUlvE_clEvENKUlvE_clEvEUldE_St5arrayIPcLm2EEEEviT0_T1_, .Lfunc_end4-_ZN2at6native29vectorized_elementwise_kernelILi4EZZZNS0_12_GLOBAL__N_130modified_bessel_i1_kernel_cudaERNS_18TensorIteratorBaseEENKUlvE_clEvENKUlvE_clEvEUldE_St5arrayIPcLm2EEEEviT0_T1_
                                        ; -- End function
	.set _ZN2at6native29vectorized_elementwise_kernelILi4EZZZNS0_12_GLOBAL__N_130modified_bessel_i1_kernel_cudaERNS_18TensorIteratorBaseEENKUlvE_clEvENKUlvE_clEvEUldE_St5arrayIPcLm2EEEEviT0_T1_.num_vgpr, max(32, .L_ZN2at6native25elementwise_kernel_helperILb0EZZZNS0_12_GLOBAL__N_130modified_bessel_i1_kernel_cudaERNS_18TensorIteratorBaseEENKUlvE_clEvENKUlvE_clEvEUldE_NS0_6memory8policies10vectorizedILi4ESt5arrayIPcLm2EELi4EEEEEvT0_T1_.num_vgpr, .L_ZN2at6native25elementwise_kernel_helperILb0EZZZNS0_12_GLOBAL__N_130modified_bessel_i1_kernel_cudaERNS_18TensorIteratorBaseEENKUlvE_clEvENKUlvE_clEvEUldE_NS0_6memory8policies11unroll_baseILi256ESt5arrayIPcLm2EE23TrivialOffsetCalculatorILi1EjESF_NS8_15LoadWithoutCastENS8_16StoreWithoutCastELi4ELi1EEEEEvT0_T1_.num_vgpr)
	.set _ZN2at6native29vectorized_elementwise_kernelILi4EZZZNS0_12_GLOBAL__N_130modified_bessel_i1_kernel_cudaERNS_18TensorIteratorBaseEENKUlvE_clEvENKUlvE_clEvEUldE_St5arrayIPcLm2EEEEviT0_T1_.num_agpr, max(0, .L_ZN2at6native25elementwise_kernel_helperILb0EZZZNS0_12_GLOBAL__N_130modified_bessel_i1_kernel_cudaERNS_18TensorIteratorBaseEENKUlvE_clEvENKUlvE_clEvEUldE_NS0_6memory8policies10vectorizedILi4ESt5arrayIPcLm2EELi4EEEEEvT0_T1_.num_agpr, .L_ZN2at6native25elementwise_kernel_helperILb0EZZZNS0_12_GLOBAL__N_130modified_bessel_i1_kernel_cudaERNS_18TensorIteratorBaseEENKUlvE_clEvENKUlvE_clEvEUldE_NS0_6memory8policies11unroll_baseILi256ESt5arrayIPcLm2EE23TrivialOffsetCalculatorILi1EjESF_NS8_15LoadWithoutCastENS8_16StoreWithoutCastELi4ELi1EEEEEvT0_T1_.num_agpr)
	.set _ZN2at6native29vectorized_elementwise_kernelILi4EZZZNS0_12_GLOBAL__N_130modified_bessel_i1_kernel_cudaERNS_18TensorIteratorBaseEENKUlvE_clEvENKUlvE_clEvEUldE_St5arrayIPcLm2EEEEviT0_T1_.numbered_sgpr, max(33, .L_ZN2at6native25elementwise_kernel_helperILb0EZZZNS0_12_GLOBAL__N_130modified_bessel_i1_kernel_cudaERNS_18TensorIteratorBaseEENKUlvE_clEvENKUlvE_clEvEUldE_NS0_6memory8policies10vectorizedILi4ESt5arrayIPcLm2EELi4EEEEEvT0_T1_.numbered_sgpr, .L_ZN2at6native25elementwise_kernel_helperILb0EZZZNS0_12_GLOBAL__N_130modified_bessel_i1_kernel_cudaERNS_18TensorIteratorBaseEENKUlvE_clEvENKUlvE_clEvEUldE_NS0_6memory8policies11unroll_baseILi256ESt5arrayIPcLm2EE23TrivialOffsetCalculatorILi1EjESF_NS8_15LoadWithoutCastENS8_16StoreWithoutCastELi4ELi1EEEEEvT0_T1_.numbered_sgpr)
	.set _ZN2at6native29vectorized_elementwise_kernelILi4EZZZNS0_12_GLOBAL__N_130modified_bessel_i1_kernel_cudaERNS_18TensorIteratorBaseEENKUlvE_clEvENKUlvE_clEvEUldE_St5arrayIPcLm2EEEEviT0_T1_.num_named_barrier, max(0, .L_ZN2at6native25elementwise_kernel_helperILb0EZZZNS0_12_GLOBAL__N_130modified_bessel_i1_kernel_cudaERNS_18TensorIteratorBaseEENKUlvE_clEvENKUlvE_clEvEUldE_NS0_6memory8policies10vectorizedILi4ESt5arrayIPcLm2EELi4EEEEEvT0_T1_.num_named_barrier, .L_ZN2at6native25elementwise_kernel_helperILb0EZZZNS0_12_GLOBAL__N_130modified_bessel_i1_kernel_cudaERNS_18TensorIteratorBaseEENKUlvE_clEvENKUlvE_clEvEUldE_NS0_6memory8policies11unroll_baseILi256ESt5arrayIPcLm2EE23TrivialOffsetCalculatorILi1EjESF_NS8_15LoadWithoutCastENS8_16StoreWithoutCastELi4ELi1EEEEEvT0_T1_.num_named_barrier)
	.set _ZN2at6native29vectorized_elementwise_kernelILi4EZZZNS0_12_GLOBAL__N_130modified_bessel_i1_kernel_cudaERNS_18TensorIteratorBaseEENKUlvE_clEvENKUlvE_clEvEUldE_St5arrayIPcLm2EEEEviT0_T1_.private_seg_size, 0+max(.L_ZN2at6native25elementwise_kernel_helperILb0EZZZNS0_12_GLOBAL__N_130modified_bessel_i1_kernel_cudaERNS_18TensorIteratorBaseEENKUlvE_clEvENKUlvE_clEvEUldE_NS0_6memory8policies10vectorizedILi4ESt5arrayIPcLm2EELi4EEEEEvT0_T1_.private_seg_size, .L_ZN2at6native25elementwise_kernel_helperILb0EZZZNS0_12_GLOBAL__N_130modified_bessel_i1_kernel_cudaERNS_18TensorIteratorBaseEENKUlvE_clEvENKUlvE_clEvEUldE_NS0_6memory8policies11unroll_baseILi256ESt5arrayIPcLm2EE23TrivialOffsetCalculatorILi1EjESF_NS8_15LoadWithoutCastENS8_16StoreWithoutCastELi4ELi1EEEEEvT0_T1_.private_seg_size)
	.set _ZN2at6native29vectorized_elementwise_kernelILi4EZZZNS0_12_GLOBAL__N_130modified_bessel_i1_kernel_cudaERNS_18TensorIteratorBaseEENKUlvE_clEvENKUlvE_clEvEUldE_St5arrayIPcLm2EEEEviT0_T1_.uses_vcc, or(1, .L_ZN2at6native25elementwise_kernel_helperILb0EZZZNS0_12_GLOBAL__N_130modified_bessel_i1_kernel_cudaERNS_18TensorIteratorBaseEENKUlvE_clEvENKUlvE_clEvEUldE_NS0_6memory8policies10vectorizedILi4ESt5arrayIPcLm2EELi4EEEEEvT0_T1_.uses_vcc, .L_ZN2at6native25elementwise_kernel_helperILb0EZZZNS0_12_GLOBAL__N_130modified_bessel_i1_kernel_cudaERNS_18TensorIteratorBaseEENKUlvE_clEvENKUlvE_clEvEUldE_NS0_6memory8policies11unroll_baseILi256ESt5arrayIPcLm2EE23TrivialOffsetCalculatorILi1EjESF_NS8_15LoadWithoutCastENS8_16StoreWithoutCastELi4ELi1EEEEEvT0_T1_.uses_vcc)
	.set _ZN2at6native29vectorized_elementwise_kernelILi4EZZZNS0_12_GLOBAL__N_130modified_bessel_i1_kernel_cudaERNS_18TensorIteratorBaseEENKUlvE_clEvENKUlvE_clEvEUldE_St5arrayIPcLm2EEEEviT0_T1_.uses_flat_scratch, or(0, .L_ZN2at6native25elementwise_kernel_helperILb0EZZZNS0_12_GLOBAL__N_130modified_bessel_i1_kernel_cudaERNS_18TensorIteratorBaseEENKUlvE_clEvENKUlvE_clEvEUldE_NS0_6memory8policies10vectorizedILi4ESt5arrayIPcLm2EELi4EEEEEvT0_T1_.uses_flat_scratch, .L_ZN2at6native25elementwise_kernel_helperILb0EZZZNS0_12_GLOBAL__N_130modified_bessel_i1_kernel_cudaERNS_18TensorIteratorBaseEENKUlvE_clEvENKUlvE_clEvEUldE_NS0_6memory8policies11unroll_baseILi256ESt5arrayIPcLm2EE23TrivialOffsetCalculatorILi1EjESF_NS8_15LoadWithoutCastENS8_16StoreWithoutCastELi4ELi1EEEEEvT0_T1_.uses_flat_scratch)
	.set _ZN2at6native29vectorized_elementwise_kernelILi4EZZZNS0_12_GLOBAL__N_130modified_bessel_i1_kernel_cudaERNS_18TensorIteratorBaseEENKUlvE_clEvENKUlvE_clEvEUldE_St5arrayIPcLm2EEEEviT0_T1_.has_dyn_sized_stack, or(0, .L_ZN2at6native25elementwise_kernel_helperILb0EZZZNS0_12_GLOBAL__N_130modified_bessel_i1_kernel_cudaERNS_18TensorIteratorBaseEENKUlvE_clEvENKUlvE_clEvEUldE_NS0_6memory8policies10vectorizedILi4ESt5arrayIPcLm2EELi4EEEEEvT0_T1_.has_dyn_sized_stack, .L_ZN2at6native25elementwise_kernel_helperILb0EZZZNS0_12_GLOBAL__N_130modified_bessel_i1_kernel_cudaERNS_18TensorIteratorBaseEENKUlvE_clEvENKUlvE_clEvEUldE_NS0_6memory8policies11unroll_baseILi256ESt5arrayIPcLm2EE23TrivialOffsetCalculatorILi1EjESF_NS8_15LoadWithoutCastENS8_16StoreWithoutCastELi4ELi1EEEEEvT0_T1_.has_dyn_sized_stack)
	.set _ZN2at6native29vectorized_elementwise_kernelILi4EZZZNS0_12_GLOBAL__N_130modified_bessel_i1_kernel_cudaERNS_18TensorIteratorBaseEENKUlvE_clEvENKUlvE_clEvEUldE_St5arrayIPcLm2EEEEviT0_T1_.has_recursion, or(0, .L_ZN2at6native25elementwise_kernel_helperILb0EZZZNS0_12_GLOBAL__N_130modified_bessel_i1_kernel_cudaERNS_18TensorIteratorBaseEENKUlvE_clEvENKUlvE_clEvEUldE_NS0_6memory8policies10vectorizedILi4ESt5arrayIPcLm2EELi4EEEEEvT0_T1_.has_recursion, .L_ZN2at6native25elementwise_kernel_helperILb0EZZZNS0_12_GLOBAL__N_130modified_bessel_i1_kernel_cudaERNS_18TensorIteratorBaseEENKUlvE_clEvENKUlvE_clEvEUldE_NS0_6memory8policies11unroll_baseILi256ESt5arrayIPcLm2EE23TrivialOffsetCalculatorILi1EjESF_NS8_15LoadWithoutCastENS8_16StoreWithoutCastELi4ELi1EEEEEvT0_T1_.has_recursion)
	.set _ZN2at6native29vectorized_elementwise_kernelILi4EZZZNS0_12_GLOBAL__N_130modified_bessel_i1_kernel_cudaERNS_18TensorIteratorBaseEENKUlvE_clEvENKUlvE_clEvEUldE_St5arrayIPcLm2EEEEviT0_T1_.has_indirect_call, or(0, .L_ZN2at6native25elementwise_kernel_helperILb0EZZZNS0_12_GLOBAL__N_130modified_bessel_i1_kernel_cudaERNS_18TensorIteratorBaseEENKUlvE_clEvENKUlvE_clEvEUldE_NS0_6memory8policies10vectorizedILi4ESt5arrayIPcLm2EELi4EEEEEvT0_T1_.has_indirect_call, .L_ZN2at6native25elementwise_kernel_helperILb0EZZZNS0_12_GLOBAL__N_130modified_bessel_i1_kernel_cudaERNS_18TensorIteratorBaseEENKUlvE_clEvENKUlvE_clEvEUldE_NS0_6memory8policies11unroll_baseILi256ESt5arrayIPcLm2EE23TrivialOffsetCalculatorILi1EjESF_NS8_15LoadWithoutCastENS8_16StoreWithoutCastELi4ELi1EEEEEvT0_T1_.has_indirect_call)
	.section	.AMDGPU.csdata,"",@progbits
; Kernel info:
; codeLenInByte = 168
; TotalNumSgprs: 35
; NumVgprs: 32
; ScratchSize: 0
; MemoryBound: 0
; FloatMode: 240
; IeeeMode: 1
; LDSByteSize: 0 bytes/workgroup (compile time only)
; SGPRBlocks: 0
; VGPRBlocks: 3
; NumSGPRsForWavesPerEU: 35
; NumVGPRsForWavesPerEU: 32
; Occupancy: 16
; WaveLimiterHint : 0
; COMPUTE_PGM_RSRC2:SCRATCH_EN: 0
; COMPUTE_PGM_RSRC2:USER_SGPR: 6
; COMPUTE_PGM_RSRC2:TRAP_HANDLER: 0
; COMPUTE_PGM_RSRC2:TGID_X_EN: 1
; COMPUTE_PGM_RSRC2:TGID_Y_EN: 0
; COMPUTE_PGM_RSRC2:TGID_Z_EN: 0
; COMPUTE_PGM_RSRC2:TIDIG_COMP_CNT: 0
	.section	.text._ZN2at6native29vectorized_elementwise_kernelILi2EZZZNS0_12_GLOBAL__N_130modified_bessel_i1_kernel_cudaERNS_18TensorIteratorBaseEENKUlvE_clEvENKUlvE_clEvEUldE_St5arrayIPcLm2EEEEviT0_T1_,"axG",@progbits,_ZN2at6native29vectorized_elementwise_kernelILi2EZZZNS0_12_GLOBAL__N_130modified_bessel_i1_kernel_cudaERNS_18TensorIteratorBaseEENKUlvE_clEvENKUlvE_clEvEUldE_St5arrayIPcLm2EEEEviT0_T1_,comdat
	.globl	_ZN2at6native29vectorized_elementwise_kernelILi2EZZZNS0_12_GLOBAL__N_130modified_bessel_i1_kernel_cudaERNS_18TensorIteratorBaseEENKUlvE_clEvENKUlvE_clEvEUldE_St5arrayIPcLm2EEEEviT0_T1_ ; -- Begin function _ZN2at6native29vectorized_elementwise_kernelILi2EZZZNS0_12_GLOBAL__N_130modified_bessel_i1_kernel_cudaERNS_18TensorIteratorBaseEENKUlvE_clEvENKUlvE_clEvEUldE_St5arrayIPcLm2EEEEviT0_T1_
	.p2align	8
	.type	_ZN2at6native29vectorized_elementwise_kernelILi2EZZZNS0_12_GLOBAL__N_130modified_bessel_i1_kernel_cudaERNS_18TensorIteratorBaseEENKUlvE_clEvENKUlvE_clEvEUldE_St5arrayIPcLm2EEEEviT0_T1_,@function
_ZN2at6native29vectorized_elementwise_kernelILi2EZZZNS0_12_GLOBAL__N_130modified_bessel_i1_kernel_cudaERNS_18TensorIteratorBaseEENKUlvE_clEvENKUlvE_clEvEUldE_St5arrayIPcLm2EEEEviT0_T1_: ; @_ZN2at6native29vectorized_elementwise_kernelILi2EZZZNS0_12_GLOBAL__N_130modified_bessel_i1_kernel_cudaERNS_18TensorIteratorBaseEENKUlvE_clEvENKUlvE_clEvEUldE_St5arrayIPcLm2EEEEviT0_T1_
; %bb.0:
	s_add_u32 s0, s0, s7
	s_clause 0x1
	s_load_dword s7, s[4:5], 0x0
	s_load_dwordx4 s[8:11], s[4:5], 0x8
	s_addc_u32 s1, s1, 0
	s_lshl_b32 s4, s6, 10
	s_mov_b32 s5, -1
	s_mov_b32 s32, 0
	s_waitcnt lgkmcnt(0)
	s_sub_i32 s7, s7, s4
	s_cmpk_gt_i32 s7, 0x3ff
	s_cbranch_scc1 .LBB5_3
; %bb.1:
	s_and_b32 vcc_lo, exec_lo, s5
	s_cbranch_vccnz .LBB5_52
.LBB5_2:
	s_endpgm
.LBB5_3:
	s_ashr_i32 s5, s4, 31
	v_lshlrev_b32_e32 v15, 4, v0
	s_lshl_b64 s[12:13], s[4:5], 3
                                        ; implicit-def: $vgpr5_vgpr6
	s_add_u32 s4, s10, s12
	s_addc_u32 s5, s11, s13
	global_load_dwordx4 v[7:10], v15, s[4:5]
	v_add_co_u32 v1, s4, s4, v15
	v_add_co_ci_u32_e64 v2, null, s5, 0, s4
	v_add_co_u32 v1, vcc_lo, 0x1000, v1
	v_add_co_ci_u32_e64 v2, null, 0, v2, vcc_lo
	global_load_dwordx4 v[1:4], v[1:2], off
	s_waitcnt vmcnt(1)
	v_cmp_ge_f64_e64 s4, 0x40200000, |v[7:8]|
	s_and_saveexec_b32 s5, s4
	s_xor_b32 s4, exec_lo, s5
	s_cbranch_execz .LBB5_9
; %bb.4:
	v_fma_f64 v[5:6], |v[7:8]|, 0.5, -2.0
	s_mov_b32 s14, 0xc38a0576
	s_mov_b32 s15, 0xbc7857d0
	s_mov_b32 s17, 0x3c499f2a
	s_mov_b32 s16, 0xc3c4014
	s_mov_b32 s5, exec_lo
	v_fma_f64 v[11:12], v[5:6], s[16:17], s[14:15]
	s_mov_b32 s17, 0xbc499f2a
	s_mov_b32 s14, 0xe593bfac
	;; [unrolled: 1-line block ×3, first 2 shown]
	v_fma_f64 v[13:14], v[5:6], v[11:12], s[16:17]
	s_mov_b32 s16, 0x3b39803f
	s_mov_b32 s17, 0xbc7abc9e
	v_add_f64 v[13:14], v[13:14], s[14:15]
	s_mov_b32 s14, 0x7e0d1573
	s_mov_b32 s15, 0xbcd3eaaa
	v_fma_f64 v[11:12], v[5:6], v[13:14], -v[11:12]
	v_add_f64 v[11:12], v[11:12], s[14:15]
	s_mov_b32 s14, 0x615290c
	s_mov_b32 s15, 0x3d011d7f
	v_fma_f64 v[13:14], v[5:6], v[11:12], -v[13:14]
	;; [unrolled: 4-line block ×20, first 2 shown]
	v_add_f64 v[13:14], v[13:14], s[14:15]
	s_mov_b32 s14, 0x652b82fe
	s_mov_b32 s15, 0x3ff71547
	v_mul_f64 v[16:17], |v[7:8]|, s[14:15]
	s_mov_b32 s14, 0x7913a26a
	s_mov_b32 s15, 0xbf85a29f
	v_fma_f64 v[11:12], v[5:6], v[13:14], -v[11:12]
	v_rndne_f64_e32 v[16:17], v[16:17]
	v_add_f64 v[11:12], v[11:12], s[14:15]
	s_mov_b32 s14, 0xfefa39ef
	s_mov_b32 s15, 0xbfe62e42
	v_fma_f64 v[18:19], v[16:17], s[14:15], |v[7:8]|
	s_mov_b32 s14, 0xe7bb2349
	s_mov_b32 s15, 0x3f9951e3
	v_fma_f64 v[13:14], v[5:6], v[11:12], -v[13:14]
	v_fma_f64 v[18:19], v[16:17], s[16:17], v[18:19]
	s_mov_b32 s16, 0x6a5dcb37
	s_mov_b32 s17, 0x3e5ade15
	v_cvt_i32_f64_e32 v16, v[16:17]
	v_add_f64 v[13:14], v[13:14], s[14:15]
	s_mov_b32 s14, 0xfca7ab0c
	s_mov_b32 s15, 0x3e928af3
	v_fma_f64 v[20:21], v[18:19], s[16:17], s[14:15]
	s_mov_b32 s14, 0x537c9ebc
	s_mov_b32 s16, 0x623fde64
	;; [unrolled: 1-line block ×4, first 2 shown]
	v_fma_f64 v[11:12], v[5:6], v[13:14], -v[11:12]
	v_fma_f64 v[20:21], v[18:19], v[20:21], s[16:17]
	s_mov_b32 s16, 0x14761f6e
	s_mov_b32 s17, 0x3f2a01a0
	v_add_f64 v[11:12], v[11:12], s[14:15]
	s_mov_b32 s14, 0x7c89e6b0
	s_mov_b32 s15, 0x3efa0199
	v_fma_f64 v[20:21], v[18:19], v[20:21], s[14:15]
	s_mov_b32 s14, 0xd536f53c
	s_mov_b32 s15, 0x3fba46da
	v_fma_f64 v[13:14], v[5:6], v[11:12], -v[13:14]
	v_fma_f64 v[20:21], v[18:19], v[20:21], s[16:17]
	s_mov_b32 s16, 0x11122322
	s_mov_b32 s17, 0x3f811111
	v_add_f64 v[13:14], v[13:14], s[14:15]
	s_mov_b32 s14, 0x1852b7b0
	s_mov_b32 s15, 0x3f56c16c
	v_fma_f64 v[20:21], v[18:19], v[20:21], s[14:15]
	s_mov_b32 s14, 0x469192e
	s_mov_b32 s15, 0xbfc694d1
	;; [unrolled: 10-line block ×3, first 2 shown]
	v_fma_f64 v[5:6], v[5:6], v[11:12], -v[13:14]
	v_fma_f64 v[11:12], v[18:19], v[20:21], s[16:17]
	v_add_f64 v[5:6], v[5:6], s[14:15]
	s_mov_b32 s14, 11
	s_mov_b32 s15, 0x3fe00000
	v_fma_f64 v[11:12], v[18:19], v[11:12], s[14:15]
	v_add_f64 v[5:6], v[5:6], -v[13:14]
	v_fma_f64 v[11:12], v[18:19], v[11:12], 1.0
	v_mul_f64 v[5:6], v[5:6], 0.5
	v_fma_f64 v[13:14], v[18:19], v[11:12], 1.0
	v_mul_f64 v[11:12], |v[7:8]|, v[5:6]
                                        ; implicit-def: $vgpr5_vgpr6
	v_cmpx_ngt_f64_e32 0, v[7:8]
	s_xor_b32 s5, exec_lo, s5
	s_cbranch_execz .LBB5_6
; %bb.5:
	v_ldexp_f64 v[5:6], v[13:14], v16
	v_cmp_nlt_f64_e64 vcc_lo, 0x40900000, |v[7:8]|
                                        ; implicit-def: $vgpr13_vgpr14
                                        ; implicit-def: $vgpr16
	v_cndmask_b32_e32 v6, 0x7ff00000, v6, vcc_lo
	v_cndmask_b32_e32 v5, 0, v5, vcc_lo
	v_mul_f64 v[5:6], v[5:6], v[11:12]
                                        ; implicit-def: $vgpr11_vgpr12
.LBB5_6:
	s_andn2_saveexec_b32 s5, s5
	s_cbranch_execz .LBB5_8
; %bb.7:
	v_ldexp_f64 v[5:6], -v[13:14], v16
	v_cmp_nlt_f64_e64 vcc_lo, 0x40900000, |v[7:8]|
	v_cndmask_b32_e32 v6, 0xfff00000, v6, vcc_lo
	v_cndmask_b32_e32 v5, 0, v5, vcc_lo
	v_mul_f64 v[5:6], v[5:6], v[11:12]
.LBB5_8:
	s_or_b32 exec_lo, exec_lo, s5
.LBB5_9:
	s_andn2_saveexec_b32 s5, s4
	s_cbranch_execz .LBB5_15
; %bb.10:
	v_and_b32_e32 v6, 0x7fffffff, v8
	v_mov_b32_e32 v5, v7
	s_mov_b32 s14, 0xea87b950
	s_mov_b32 s15, 0x3c545b8a
	;; [unrolled: 1-line block ×4, first 2 shown]
	v_div_scale_f64 v[11:12], null, v[5:6], v[5:6], 0x40400000
	v_div_scale_f64 v[5:6], vcc_lo, 0x40400000, v[5:6], 0x40400000
	v_cmp_ngt_f64_e64 s4, 0, v[7:8]
	v_rcp_f64_e32 v[13:14], v[11:12]
	v_fma_f64 v[16:17], -v[11:12], v[13:14], 1.0
	v_fma_f64 v[13:14], v[13:14], v[16:17], v[13:14]
	v_fma_f64 v[16:17], -v[11:12], v[13:14], 1.0
	v_fma_f64 v[13:14], v[13:14], v[16:17], v[13:14]
	v_mul_f64 v[16:17], v[5:6], v[13:14]
	v_fma_f64 v[5:6], -v[11:12], v[16:17], v[5:6]
	v_div_fmas_f64 v[5:6], v[5:6], v[13:14], v[16:17]
	v_cmp_nlt_f64_e64 vcc_lo, 0x40900000, |v[7:8]|
	v_div_fixup_f64 v[5:6], v[5:6], |v[7:8]|, 0x40400000
	v_add_f64 v[5:6], v[5:6], -2.0
	v_fma_f64 v[11:12], v[5:6], s[16:17], s[14:15]
	s_mov_b32 s17, 0xbc61556d
	s_mov_b32 s14, 0xb2532277
	;; [unrolled: 1-line block ×3, first 2 shown]
	v_fma_f64 v[13:14], v[5:6], v[11:12], s[16:17]
	s_mov_b32 s16, 0x6a5dcb37
	s_mov_b32 s17, 0x3e5ade15
	v_add_f64 v[13:14], v[13:14], s[14:15]
	s_mov_b32 s14, 0x9c773320
	s_mov_b32 s15, 0xbc82806c
	v_fma_f64 v[11:12], v[5:6], v[13:14], -v[11:12]
	v_add_f64 v[11:12], v[11:12], s[14:15]
	s_mov_b32 s14, 0xfceb588a
	s_mov_b32 s15, 0x3cb55915
	v_fma_f64 v[13:14], v[5:6], v[11:12], -v[13:14]
	;; [unrolled: 4-line block ×14, first 2 shown]
	v_add_f64 v[13:14], v[13:14], s[14:15]
	s_mov_b32 s14, 0x652b82fe
	s_mov_b32 s15, 0x3ff71547
	v_mul_f64 v[16:17], |v[7:8]|, s[14:15]
	s_mov_b32 s14, 0x5423dd80
	s_mov_b32 s15, 0xbe0334ca
	v_fma_f64 v[11:12], v[5:6], v[13:14], -v[11:12]
	v_rndne_f64_e32 v[16:17], v[16:17]
	v_add_f64 v[11:12], v[11:12], s[14:15]
	s_mov_b32 s14, 0xfefa39ef
	s_mov_b32 s15, 0xbfe62e42
	v_fma_f64 v[18:19], v[16:17], s[14:15], |v[7:8]|
	s_mov_b32 s14, 0x9ad53528
	s_mov_b32 s15, 0xbe30790b
	v_fma_f64 v[13:14], v[5:6], v[11:12], -v[13:14]
	v_add_f64 v[13:14], v[13:14], s[14:15]
	s_mov_b32 s14, 0x3b39803f
	s_mov_b32 s15, 0xbc7abc9e
	v_fma_f64 v[18:19], v[16:17], s[14:15], v[18:19]
	s_mov_b32 s14, 0xfca7ab0c
	s_mov_b32 s15, 0x3e928af3
	v_cvt_i32_f64_e32 v16, v[16:17]
	v_fma_f64 v[11:12], v[5:6], v[13:14], -v[11:12]
	v_fma_f64 v[20:21], v[18:19], s[16:17], s[14:15]
	s_mov_b32 s14, 0x94bb46c1
	s_mov_b32 s15, 0xbe5c4153
	v_add_f64 v[11:12], v[11:12], s[14:15]
	s_mov_b32 s14, 0x623fde64
	s_mov_b32 s15, 0x3ec71dee
	v_fma_f64 v[20:21], v[18:19], v[20:21], s[14:15]
	s_mov_b32 s14, 0x7c89e6b0
	s_mov_b32 s15, 0x3efa0199
	v_fma_f64 v[13:14], v[5:6], v[11:12], -v[13:14]
	v_fma_f64 v[20:21], v[18:19], v[20:21], s[14:15]
	s_mov_b32 s14, 0x2e9e5443
	s_mov_b32 s15, 0xbe90dbfd
	v_add_f64 v[13:14], v[13:14], s[14:15]
	s_mov_b32 s14, 0x14761f6e
	s_mov_b32 s15, 0x3f2a01a0
	v_fma_f64 v[20:21], v[18:19], v[20:21], s[14:15]
	s_mov_b32 s14, 0x1852b7b0
	s_mov_b32 s15, 0x3f56c16c
	;; [unrolled: 10-line block ×4, first 2 shown]
	v_fma_f64 v[11:12], v[5:6], v[13:14], -v[11:12]
	v_fma_f64 v[20:21], v[18:19], v[20:21], s[14:15]
	s_mov_b32 s14, 0x53fcdb4c
	s_mov_b32 s15, 0xbf83fda0
	v_add_f64 v[11:12], v[11:12], s[14:15]
	s_mov_b32 s14, 0xb55b1514
	s_mov_b32 s15, 0x3fe8ea18
	v_fma_f64 v[20:21], v[18:19], v[20:21], 1.0
	v_fma_f64 v[5:6], v[5:6], v[11:12], -v[13:14]
	v_fma_f64 v[11:12], v[18:19], v[20:21], 1.0
	v_add_f64 v[5:6], v[5:6], s[14:15]
	v_ldexp_f64 v[11:12], v[11:12], v16
	v_add_f64 v[13:14], v[5:6], -v[13:14]
                                        ; implicit-def: $vgpr5_vgpr6
	v_cndmask_b32_e32 v12, 0x7ff00000, v12, vcc_lo
	v_cndmask_b32_e32 v11, 0, v11, vcc_lo
	s_and_saveexec_b32 s14, s4
	s_xor_b32 s4, exec_lo, s14
	s_cbranch_execz .LBB5_12
; %bb.11:
	v_cmp_gt_f64_e64 s14, 0x10000000, |v[7:8]|
	v_mul_f64 v[13:14], v[13:14], 0.5
	v_cndmask_b32_e64 v5, 0, 0x100, s14
	v_mul_f64 v[11:12], v[11:12], v[13:14]
	v_ldexp_f64 v[5:6], |v[7:8]|, v5
	v_rsq_f64_e32 v[7:8], v[5:6]
	v_cmp_class_f64_e64 vcc_lo, v[5:6], 0x260
	v_mul_f64 v[16:17], v[5:6], v[7:8]
	v_mul_f64 v[7:8], v[7:8], 0.5
	v_fma_f64 v[18:19], -v[7:8], v[16:17], 0.5
	v_fma_f64 v[16:17], v[16:17], v[18:19], v[16:17]
	v_fma_f64 v[7:8], v[7:8], v[18:19], v[7:8]
	v_fma_f64 v[18:19], -v[16:17], v[16:17], v[5:6]
	v_fma_f64 v[16:17], v[18:19], v[7:8], v[16:17]
	v_fma_f64 v[18:19], -v[16:17], v[16:17], v[5:6]
	v_fma_f64 v[7:8], v[18:19], v[7:8], v[16:17]
	v_cndmask_b32_e64 v16, 0, 0xffffff80, s14
	v_ldexp_f64 v[7:8], v[7:8], v16
	v_cndmask_b32_e32 v6, v8, v6, vcc_lo
	v_cndmask_b32_e32 v5, v7, v5, vcc_lo
	v_div_scale_f64 v[7:8], null, v[5:6], v[5:6], v[11:12]
	v_rcp_f64_e32 v[13:14], v[7:8]
	v_fma_f64 v[16:17], -v[7:8], v[13:14], 1.0
	v_fma_f64 v[13:14], v[13:14], v[16:17], v[13:14]
	v_fma_f64 v[16:17], -v[7:8], v[13:14], 1.0
	v_fma_f64 v[13:14], v[13:14], v[16:17], v[13:14]
	v_div_scale_f64 v[16:17], vcc_lo, v[11:12], v[5:6], v[11:12]
	v_mul_f64 v[18:19], v[16:17], v[13:14]
	v_fma_f64 v[7:8], -v[7:8], v[18:19], v[16:17]
	v_div_fmas_f64 v[7:8], v[7:8], v[13:14], v[18:19]
                                        ; implicit-def: $vgpr13_vgpr14
	v_div_fixup_f64 v[5:6], v[7:8], v[5:6], v[11:12]
                                        ; implicit-def: $vgpr11_vgpr12
.LBB5_12:
	s_andn2_saveexec_b32 s4, s4
	s_cbranch_execz .LBB5_14
; %bb.13:
	v_cmp_gt_f64_e64 s14, 0x10000000, |v[7:8]|
	v_mul_f64 v[13:14], v[13:14], -0.5
	v_cndmask_b32_e64 v5, 0, 0x100, s14
	v_mul_f64 v[11:12], v[11:12], v[13:14]
	v_ldexp_f64 v[5:6], |v[7:8]|, v5
	v_rsq_f64_e32 v[7:8], v[5:6]
	v_cmp_class_f64_e64 vcc_lo, v[5:6], 0x260
	v_mul_f64 v[16:17], v[5:6], v[7:8]
	v_mul_f64 v[7:8], v[7:8], 0.5
	v_fma_f64 v[18:19], -v[7:8], v[16:17], 0.5
	v_fma_f64 v[16:17], v[16:17], v[18:19], v[16:17]
	v_fma_f64 v[7:8], v[7:8], v[18:19], v[7:8]
	v_fma_f64 v[18:19], -v[16:17], v[16:17], v[5:6]
	v_fma_f64 v[16:17], v[18:19], v[7:8], v[16:17]
	v_fma_f64 v[18:19], -v[16:17], v[16:17], v[5:6]
	v_fma_f64 v[7:8], v[18:19], v[7:8], v[16:17]
	v_cndmask_b32_e64 v16, 0, 0xffffff80, s14
	v_ldexp_f64 v[7:8], v[7:8], v16
	v_cndmask_b32_e32 v6, v8, v6, vcc_lo
	v_cndmask_b32_e32 v5, v7, v5, vcc_lo
	v_div_scale_f64 v[7:8], null, v[5:6], v[5:6], v[11:12]
	v_rcp_f64_e32 v[13:14], v[7:8]
	v_fma_f64 v[16:17], -v[7:8], v[13:14], 1.0
	v_fma_f64 v[13:14], v[13:14], v[16:17], v[13:14]
	v_fma_f64 v[16:17], -v[7:8], v[13:14], 1.0
	v_fma_f64 v[13:14], v[13:14], v[16:17], v[13:14]
	v_div_scale_f64 v[16:17], vcc_lo, v[11:12], v[5:6], v[11:12]
	v_mul_f64 v[18:19], v[16:17], v[13:14]
	v_fma_f64 v[7:8], -v[7:8], v[18:19], v[16:17]
	v_div_fmas_f64 v[7:8], v[7:8], v[13:14], v[18:19]
	v_div_fixup_f64 v[5:6], v[7:8], v[5:6], v[11:12]
.LBB5_14:
	s_or_b32 exec_lo, exec_lo, s4
.LBB5_15:
	s_or_b32 exec_lo, exec_lo, s5
	v_cmp_ge_f64_e64 s4, 0x40200000, |v[9:10]|
	s_and_saveexec_b32 s5, s4
	s_xor_b32 s4, exec_lo, s5
	s_cbranch_execz .LBB5_21
; %bb.16:
	v_fma_f64 v[7:8], |v[9:10]|, 0.5, -2.0
	s_mov_b32 s14, 0xc38a0576
	s_mov_b32 s15, 0xbc7857d0
	;; [unrolled: 1-line block ×4, first 2 shown]
	s_mov_b32 s5, exec_lo
	v_fma_f64 v[11:12], v[7:8], s[16:17], s[14:15]
	s_mov_b32 s17, 0xbc499f2a
	s_mov_b32 s14, 0xe593bfac
	s_mov_b32 s15, 0x3ca663e3
	v_fma_f64 v[13:14], v[7:8], v[11:12], s[16:17]
	s_mov_b32 s16, 0x3b39803f
	s_mov_b32 s17, 0xbc7abc9e
	v_add_f64 v[13:14], v[13:14], s[14:15]
	s_mov_b32 s14, 0x7e0d1573
	s_mov_b32 s15, 0xbcd3eaaa
	v_fma_f64 v[11:12], v[7:8], v[13:14], -v[11:12]
	v_add_f64 v[11:12], v[11:12], s[14:15]
	s_mov_b32 s14, 0x615290c
	s_mov_b32 s15, 0x3d011d7f
	v_fma_f64 v[13:14], v[7:8], v[11:12], -v[13:14]
	;; [unrolled: 4-line block ×20, first 2 shown]
	v_add_f64 v[13:14], v[13:14], s[14:15]
	s_mov_b32 s14, 0x652b82fe
	s_mov_b32 s15, 0x3ff71547
	v_mul_f64 v[16:17], |v[9:10]|, s[14:15]
	s_mov_b32 s14, 0x7913a26a
	s_mov_b32 s15, 0xbf85a29f
	v_fma_f64 v[11:12], v[7:8], v[13:14], -v[11:12]
	v_rndne_f64_e32 v[16:17], v[16:17]
	v_add_f64 v[11:12], v[11:12], s[14:15]
	s_mov_b32 s14, 0xfefa39ef
	s_mov_b32 s15, 0xbfe62e42
	v_fma_f64 v[18:19], v[16:17], s[14:15], |v[9:10]|
	s_mov_b32 s14, 0xe7bb2349
	s_mov_b32 s15, 0x3f9951e3
	v_fma_f64 v[13:14], v[7:8], v[11:12], -v[13:14]
	v_fma_f64 v[18:19], v[16:17], s[16:17], v[18:19]
	s_mov_b32 s16, 0x6a5dcb37
	s_mov_b32 s17, 0x3e5ade15
	v_cvt_i32_f64_e32 v16, v[16:17]
	v_add_f64 v[13:14], v[13:14], s[14:15]
	s_mov_b32 s14, 0xfca7ab0c
	s_mov_b32 s15, 0x3e928af3
	v_fma_f64 v[20:21], v[18:19], s[16:17], s[14:15]
	s_mov_b32 s14, 0x537c9ebc
	s_mov_b32 s16, 0x623fde64
	;; [unrolled: 1-line block ×4, first 2 shown]
	v_fma_f64 v[11:12], v[7:8], v[13:14], -v[11:12]
	v_fma_f64 v[20:21], v[18:19], v[20:21], s[16:17]
	s_mov_b32 s16, 0x14761f6e
	s_mov_b32 s17, 0x3f2a01a0
	v_add_f64 v[11:12], v[11:12], s[14:15]
	s_mov_b32 s14, 0x7c89e6b0
	s_mov_b32 s15, 0x3efa0199
	v_fma_f64 v[20:21], v[18:19], v[20:21], s[14:15]
	s_mov_b32 s14, 0xd536f53c
	s_mov_b32 s15, 0x3fba46da
	v_fma_f64 v[13:14], v[7:8], v[11:12], -v[13:14]
	v_fma_f64 v[20:21], v[18:19], v[20:21], s[16:17]
	s_mov_b32 s16, 0x11122322
	s_mov_b32 s17, 0x3f811111
	v_add_f64 v[13:14], v[13:14], s[14:15]
	s_mov_b32 s14, 0x1852b7b0
	s_mov_b32 s15, 0x3f56c16c
	v_fma_f64 v[20:21], v[18:19], v[20:21], s[14:15]
	s_mov_b32 s14, 0x469192e
	s_mov_b32 s15, 0xbfc694d1
	;; [unrolled: 10-line block ×3, first 2 shown]
	v_fma_f64 v[7:8], v[7:8], v[11:12], -v[13:14]
	v_fma_f64 v[11:12], v[18:19], v[20:21], s[16:17]
	v_add_f64 v[7:8], v[7:8], s[14:15]
	s_mov_b32 s14, 11
	s_mov_b32 s15, 0x3fe00000
	v_fma_f64 v[11:12], v[18:19], v[11:12], s[14:15]
	v_add_f64 v[7:8], v[7:8], -v[13:14]
	v_fma_f64 v[11:12], v[18:19], v[11:12], 1.0
	v_mul_f64 v[7:8], v[7:8], 0.5
	v_fma_f64 v[13:14], v[18:19], v[11:12], 1.0
	v_mul_f64 v[11:12], |v[9:10]|, v[7:8]
	v_cmpx_ngt_f64_e32 0, v[9:10]
	s_xor_b32 s5, exec_lo, s5
	s_cbranch_execz .LBB5_18
; %bb.17:
	v_ldexp_f64 v[7:8], v[13:14], v16
	v_cmp_nlt_f64_e64 vcc_lo, 0x40900000, |v[9:10]|
                                        ; implicit-def: $vgpr13_vgpr14
                                        ; implicit-def: $vgpr16
                                        ; implicit-def: $vgpr9_vgpr10
	v_cndmask_b32_e32 v8, 0x7ff00000, v8, vcc_lo
	v_cndmask_b32_e32 v7, 0, v7, vcc_lo
	v_mul_f64 v[7:8], v[7:8], v[11:12]
                                        ; implicit-def: $vgpr11_vgpr12
.LBB5_18:
	s_andn2_saveexec_b32 s5, s5
	s_cbranch_execz .LBB5_20
; %bb.19:
	v_ldexp_f64 v[7:8], -v[13:14], v16
	v_cmp_nlt_f64_e64 vcc_lo, 0x40900000, |v[9:10]|
	v_cndmask_b32_e32 v8, 0xfff00000, v8, vcc_lo
	v_cndmask_b32_e32 v7, 0, v7, vcc_lo
	v_mul_f64 v[7:8], v[7:8], v[11:12]
.LBB5_20:
	s_or_b32 exec_lo, exec_lo, s5
                                        ; implicit-def: $vgpr9_vgpr10
.LBB5_21:
	s_andn2_saveexec_b32 s5, s4
	s_cbranch_execz .LBB5_27
; %bb.22:
	v_and_b32_e32 v8, 0x7fffffff, v10
	v_mov_b32_e32 v7, v9
	s_mov_b32 s14, 0xea87b950
	s_mov_b32 s15, 0x3c545b8a
	;; [unrolled: 1-line block ×4, first 2 shown]
	v_div_scale_f64 v[11:12], null, v[7:8], v[7:8], 0x40400000
	v_div_scale_f64 v[7:8], vcc_lo, 0x40400000, v[7:8], 0x40400000
	v_cmp_ngt_f64_e64 s4, 0, v[9:10]
	v_rcp_f64_e32 v[13:14], v[11:12]
	v_fma_f64 v[16:17], -v[11:12], v[13:14], 1.0
	v_fma_f64 v[13:14], v[13:14], v[16:17], v[13:14]
	v_fma_f64 v[16:17], -v[11:12], v[13:14], 1.0
	v_fma_f64 v[13:14], v[13:14], v[16:17], v[13:14]
	v_mul_f64 v[16:17], v[7:8], v[13:14]
	v_fma_f64 v[7:8], -v[11:12], v[16:17], v[7:8]
	v_div_fmas_f64 v[7:8], v[7:8], v[13:14], v[16:17]
	v_cmp_nlt_f64_e64 vcc_lo, 0x40900000, |v[9:10]|
	v_div_fixup_f64 v[7:8], v[7:8], |v[9:10]|, 0x40400000
	v_add_f64 v[7:8], v[7:8], -2.0
	v_fma_f64 v[11:12], v[7:8], s[16:17], s[14:15]
	s_mov_b32 s17, 0xbc61556d
	s_mov_b32 s14, 0xb2532277
	;; [unrolled: 1-line block ×3, first 2 shown]
	v_fma_f64 v[13:14], v[7:8], v[11:12], s[16:17]
	s_mov_b32 s16, 0x6a5dcb37
	s_mov_b32 s17, 0x3e5ade15
	v_add_f64 v[13:14], v[13:14], s[14:15]
	s_mov_b32 s14, 0x9c773320
	s_mov_b32 s15, 0xbc82806c
	v_fma_f64 v[11:12], v[7:8], v[13:14], -v[11:12]
	v_add_f64 v[11:12], v[11:12], s[14:15]
	s_mov_b32 s14, 0xfceb588a
	s_mov_b32 s15, 0x3cb55915
	v_fma_f64 v[13:14], v[7:8], v[11:12], -v[13:14]
	v_add_f64 v[13:14], v[13:14], s[14:15]
	s_mov_b32 s14, 0x5f04a2d1
	s_mov_b32 s15, 0x3cb7d68e
	v_fma_f64 v[11:12], v[7:8], v[13:14], -v[11:12]
	v_add_f64 v[11:12], v[11:12], s[14:15]
	s_mov_b32 s14, 0x8bc4d22a
	s_mov_b32 s15, 0xbce0efcd
	v_fma_f64 v[13:14], v[7:8], v[11:12], -v[13:14]
	v_add_f64 v[13:14], v[13:14], s[14:15]
	s_mov_b32 s14, 0x138afbc7
	s_mov_b32 s15, 0xbcf12db5
	v_fma_f64 v[11:12], v[7:8], v[13:14], -v[11:12]
	v_add_f64 v[11:12], v[11:12], s[14:15]
	s_mov_b32 s14, 0x762d31e8
	s_mov_b32 s15, 0x3d0776e1
	v_fma_f64 v[13:14], v[7:8], v[11:12], -v[13:14]
	v_add_f64 v[13:14], v[13:14], s[14:15]
	s_mov_b32 s14, 0x26b3281e
	s_mov_b32 s15, 0x3d280d3c
	v_fma_f64 v[11:12], v[7:8], v[13:14], -v[11:12]
	v_add_f64 v[11:12], v[11:12], s[14:15]
	s_mov_b32 s14, 0x2e6d22a0
	s_mov_b32 s15, 0xbd17a948
	v_fma_f64 v[13:14], v[7:8], v[11:12], -v[13:14]
	v_add_f64 v[13:14], v[13:14], s[14:15]
	s_mov_b32 s14, 0x8e73e255
	s_mov_b32 s15, 0xbd5cbc45
	v_fma_f64 v[11:12], v[7:8], v[13:14], -v[11:12]
	v_add_f64 v[11:12], v[11:12], s[14:15]
	s_mov_b32 s14, 0x76ab493
	s_mov_b32 s15, 0xbd6953e1
	v_fma_f64 v[13:14], v[7:8], v[11:12], -v[13:14]
	v_add_f64 v[13:14], v[13:14], s[14:15]
	s_mov_b32 s14, 0xf6439fa3
	s_mov_b32 s15, 0x3d81e7d3
	v_fma_f64 v[11:12], v[7:8], v[13:14], -v[11:12]
	v_add_f64 v[11:12], v[11:12], s[14:15]
	s_mov_b32 s14, 0x653c457b
	s_mov_b32 s15, 0x3daf101f
	v_fma_f64 v[13:14], v[7:8], v[11:12], -v[13:14]
	v_add_f64 v[13:14], v[13:14], s[14:15]
	s_mov_b32 s14, 0xf1587865
	s_mov_b32 s15, 0x3dc1e1a1
	v_fma_f64 v[11:12], v[7:8], v[13:14], -v[11:12]
	v_add_f64 v[11:12], v[11:12], s[14:15]
	s_mov_b32 s14, 0xd4504c0c
	s_mov_b32 s15, 0xbdb4dcf9
	v_fma_f64 v[13:14], v[7:8], v[11:12], -v[13:14]
	v_add_f64 v[13:14], v[13:14], s[14:15]
	s_mov_b32 s14, 0x652b82fe
	s_mov_b32 s15, 0x3ff71547
	v_mul_f64 v[16:17], |v[9:10]|, s[14:15]
	s_mov_b32 s14, 0x5423dd80
	s_mov_b32 s15, 0xbe0334ca
	v_fma_f64 v[11:12], v[7:8], v[13:14], -v[11:12]
	v_rndne_f64_e32 v[16:17], v[16:17]
	v_add_f64 v[11:12], v[11:12], s[14:15]
	s_mov_b32 s14, 0xfefa39ef
	s_mov_b32 s15, 0xbfe62e42
	v_fma_f64 v[18:19], v[16:17], s[14:15], |v[9:10]|
	s_mov_b32 s14, 0x9ad53528
	s_mov_b32 s15, 0xbe30790b
	v_fma_f64 v[13:14], v[7:8], v[11:12], -v[13:14]
	v_add_f64 v[13:14], v[13:14], s[14:15]
	s_mov_b32 s14, 0x3b39803f
	s_mov_b32 s15, 0xbc7abc9e
	v_fma_f64 v[18:19], v[16:17], s[14:15], v[18:19]
	s_mov_b32 s14, 0xfca7ab0c
	s_mov_b32 s15, 0x3e928af3
	v_cvt_i32_f64_e32 v16, v[16:17]
	v_fma_f64 v[11:12], v[7:8], v[13:14], -v[11:12]
	v_fma_f64 v[20:21], v[18:19], s[16:17], s[14:15]
	s_mov_b32 s14, 0x94bb46c1
	s_mov_b32 s15, 0xbe5c4153
	v_add_f64 v[11:12], v[11:12], s[14:15]
	s_mov_b32 s14, 0x623fde64
	s_mov_b32 s15, 0x3ec71dee
	v_fma_f64 v[20:21], v[18:19], v[20:21], s[14:15]
	s_mov_b32 s14, 0x7c89e6b0
	s_mov_b32 s15, 0x3efa0199
	v_fma_f64 v[13:14], v[7:8], v[11:12], -v[13:14]
	v_fma_f64 v[20:21], v[18:19], v[20:21], s[14:15]
	s_mov_b32 s14, 0x2e9e5443
	s_mov_b32 s15, 0xbe90dbfd
	v_add_f64 v[13:14], v[13:14], s[14:15]
	s_mov_b32 s14, 0x14761f6e
	s_mov_b32 s15, 0x3f2a01a0
	v_fma_f64 v[20:21], v[18:19], v[20:21], s[14:15]
	s_mov_b32 s14, 0x1852b7b0
	s_mov_b32 s15, 0x3f56c16c
	v_fma_f64 v[11:12], v[7:8], v[13:14], -v[11:12]
	v_fma_f64 v[20:21], v[18:19], v[20:21], s[14:15]
	s_mov_b32 s14, 0x49ca0373
	s_mov_b32 s15, 0xbed048df
	v_add_f64 v[11:12], v[11:12], s[14:15]
	s_mov_b32 s14, 0x11122322
	s_mov_b32 s15, 0x3f811111
	v_fma_f64 v[20:21], v[18:19], v[20:21], s[14:15]
	s_mov_b32 s14, 0x555502a1
	s_mov_b32 s15, 0x3fa55555
	v_fma_f64 v[13:14], v[7:8], v[11:12], -v[13:14]
	v_fma_f64 v[20:21], v[18:19], v[20:21], s[14:15]
	s_mov_b32 s14, 0x804aa9a6
	s_mov_b32 s15, 0xbf1cfd7f
	v_add_f64 v[13:14], v[13:14], s[14:15]
	s_mov_b32 s14, 0x55555511
	s_mov_b32 s15, 0x3fc55555
	v_fma_f64 v[20:21], v[18:19], v[20:21], s[14:15]
	s_mov_b32 s14, 11
	s_mov_b32 s15, 0x3fe00000
	v_fma_f64 v[11:12], v[7:8], v[13:14], -v[11:12]
	v_fma_f64 v[20:21], v[18:19], v[20:21], s[14:15]
	s_mov_b32 s14, 0x53fcdb4c
	s_mov_b32 s15, 0xbf83fda0
	v_add_f64 v[11:12], v[11:12], s[14:15]
	s_mov_b32 s14, 0xb55b1514
	s_mov_b32 s15, 0x3fe8ea18
	v_fma_f64 v[20:21], v[18:19], v[20:21], 1.0
	v_fma_f64 v[7:8], v[7:8], v[11:12], -v[13:14]
	v_fma_f64 v[11:12], v[18:19], v[20:21], 1.0
	v_add_f64 v[7:8], v[7:8], s[14:15]
	v_ldexp_f64 v[11:12], v[11:12], v16
	v_add_f64 v[13:14], v[7:8], -v[13:14]
	v_cndmask_b32_e32 v12, 0x7ff00000, v12, vcc_lo
	v_cndmask_b32_e32 v11, 0, v11, vcc_lo
	s_and_saveexec_b32 s14, s4
	s_xor_b32 s4, exec_lo, s14
	s_cbranch_execz .LBB5_24
; %bb.23:
	v_cmp_gt_f64_e64 s14, 0x10000000, |v[9:10]|
	v_mul_f64 v[13:14], v[13:14], 0.5
	v_cndmask_b32_e64 v7, 0, 0x100, s14
	v_mul_f64 v[11:12], v[11:12], v[13:14]
	v_ldexp_f64 v[7:8], |v[9:10]|, v7
	v_rsq_f64_e32 v[9:10], v[7:8]
	v_cmp_class_f64_e64 vcc_lo, v[7:8], 0x260
	v_mul_f64 v[16:17], v[7:8], v[9:10]
	v_mul_f64 v[9:10], v[9:10], 0.5
	v_fma_f64 v[18:19], -v[9:10], v[16:17], 0.5
	v_fma_f64 v[16:17], v[16:17], v[18:19], v[16:17]
	v_fma_f64 v[9:10], v[9:10], v[18:19], v[9:10]
	v_fma_f64 v[18:19], -v[16:17], v[16:17], v[7:8]
	v_fma_f64 v[16:17], v[18:19], v[9:10], v[16:17]
	v_fma_f64 v[18:19], -v[16:17], v[16:17], v[7:8]
	v_fma_f64 v[9:10], v[18:19], v[9:10], v[16:17]
	v_cndmask_b32_e64 v16, 0, 0xffffff80, s14
	v_ldexp_f64 v[9:10], v[9:10], v16
	v_cndmask_b32_e32 v8, v10, v8, vcc_lo
	v_cndmask_b32_e32 v7, v9, v7, vcc_lo
	v_div_scale_f64 v[9:10], null, v[7:8], v[7:8], v[11:12]
	v_rcp_f64_e32 v[13:14], v[9:10]
	v_fma_f64 v[16:17], -v[9:10], v[13:14], 1.0
	v_fma_f64 v[13:14], v[13:14], v[16:17], v[13:14]
	v_fma_f64 v[16:17], -v[9:10], v[13:14], 1.0
	v_fma_f64 v[13:14], v[13:14], v[16:17], v[13:14]
	v_div_scale_f64 v[16:17], vcc_lo, v[11:12], v[7:8], v[11:12]
	v_mul_f64 v[18:19], v[16:17], v[13:14]
	v_fma_f64 v[9:10], -v[9:10], v[18:19], v[16:17]
	v_div_fmas_f64 v[9:10], v[9:10], v[13:14], v[18:19]
                                        ; implicit-def: $vgpr13_vgpr14
	v_div_fixup_f64 v[7:8], v[9:10], v[7:8], v[11:12]
                                        ; implicit-def: $vgpr9_vgpr10
                                        ; implicit-def: $vgpr11_vgpr12
.LBB5_24:
	s_andn2_saveexec_b32 s4, s4
	s_cbranch_execz .LBB5_26
; %bb.25:
	v_cmp_gt_f64_e64 s14, 0x10000000, |v[9:10]|
	v_mul_f64 v[13:14], v[13:14], -0.5
	v_cndmask_b32_e64 v7, 0, 0x100, s14
	v_mul_f64 v[11:12], v[11:12], v[13:14]
	v_ldexp_f64 v[7:8], |v[9:10]|, v7
	v_rsq_f64_e32 v[9:10], v[7:8]
	v_cmp_class_f64_e64 vcc_lo, v[7:8], 0x260
	v_mul_f64 v[16:17], v[7:8], v[9:10]
	v_mul_f64 v[9:10], v[9:10], 0.5
	v_fma_f64 v[18:19], -v[9:10], v[16:17], 0.5
	v_fma_f64 v[16:17], v[16:17], v[18:19], v[16:17]
	v_fma_f64 v[9:10], v[9:10], v[18:19], v[9:10]
	v_fma_f64 v[18:19], -v[16:17], v[16:17], v[7:8]
	v_fma_f64 v[16:17], v[18:19], v[9:10], v[16:17]
	v_fma_f64 v[18:19], -v[16:17], v[16:17], v[7:8]
	v_fma_f64 v[9:10], v[18:19], v[9:10], v[16:17]
	v_cndmask_b32_e64 v16, 0, 0xffffff80, s14
	v_ldexp_f64 v[9:10], v[9:10], v16
	v_cndmask_b32_e32 v8, v10, v8, vcc_lo
	v_cndmask_b32_e32 v7, v9, v7, vcc_lo
	v_div_scale_f64 v[9:10], null, v[7:8], v[7:8], v[11:12]
	v_rcp_f64_e32 v[13:14], v[9:10]
	v_fma_f64 v[16:17], -v[9:10], v[13:14], 1.0
	v_fma_f64 v[13:14], v[13:14], v[16:17], v[13:14]
	v_fma_f64 v[16:17], -v[9:10], v[13:14], 1.0
	v_fma_f64 v[13:14], v[13:14], v[16:17], v[13:14]
	v_div_scale_f64 v[16:17], vcc_lo, v[11:12], v[7:8], v[11:12]
	v_mul_f64 v[18:19], v[16:17], v[13:14]
	v_fma_f64 v[9:10], -v[9:10], v[18:19], v[16:17]
	v_div_fmas_f64 v[9:10], v[9:10], v[13:14], v[18:19]
	v_div_fixup_f64 v[7:8], v[9:10], v[7:8], v[11:12]
.LBB5_26:
	s_or_b32 exec_lo, exec_lo, s4
.LBB5_27:
	s_or_b32 exec_lo, exec_lo, s5
	s_waitcnt vmcnt(0)
	v_cmp_ge_f64_e64 s4, 0x40200000, |v[1:2]|
                                        ; implicit-def: $vgpr9_vgpr10
	s_and_saveexec_b32 s5, s4
	s_xor_b32 s4, exec_lo, s5
	s_cbranch_execz .LBB5_33
; %bb.28:
	v_fma_f64 v[9:10], |v[1:2]|, 0.5, -2.0
	s_mov_b32 s14, 0xc38a0576
	s_mov_b32 s15, 0xbc7857d0
	;; [unrolled: 1-line block ×4, first 2 shown]
	s_mov_b32 s5, exec_lo
	v_fma_f64 v[11:12], v[9:10], s[16:17], s[14:15]
	s_mov_b32 s17, 0xbc499f2a
	s_mov_b32 s14, 0xe593bfac
	;; [unrolled: 1-line block ×3, first 2 shown]
	v_fma_f64 v[13:14], v[9:10], v[11:12], s[16:17]
	s_mov_b32 s16, 0x3b39803f
	s_mov_b32 s17, 0xbc7abc9e
	v_add_f64 v[13:14], v[13:14], s[14:15]
	s_mov_b32 s14, 0x7e0d1573
	s_mov_b32 s15, 0xbcd3eaaa
	v_fma_f64 v[11:12], v[9:10], v[13:14], -v[11:12]
	v_add_f64 v[11:12], v[11:12], s[14:15]
	s_mov_b32 s14, 0x615290c
	s_mov_b32 s15, 0x3d011d7f
	v_fma_f64 v[13:14], v[9:10], v[11:12], -v[13:14]
	;; [unrolled: 4-line block ×20, first 2 shown]
	v_add_f64 v[13:14], v[13:14], s[14:15]
	s_mov_b32 s14, 0x652b82fe
	s_mov_b32 s15, 0x3ff71547
	v_mul_f64 v[16:17], |v[1:2]|, s[14:15]
	s_mov_b32 s14, 0x7913a26a
	s_mov_b32 s15, 0xbf85a29f
	v_fma_f64 v[11:12], v[9:10], v[13:14], -v[11:12]
	v_rndne_f64_e32 v[16:17], v[16:17]
	v_add_f64 v[11:12], v[11:12], s[14:15]
	s_mov_b32 s14, 0xfefa39ef
	s_mov_b32 s15, 0xbfe62e42
	v_fma_f64 v[18:19], v[16:17], s[14:15], |v[1:2]|
	s_mov_b32 s14, 0xe7bb2349
	s_mov_b32 s15, 0x3f9951e3
	v_fma_f64 v[13:14], v[9:10], v[11:12], -v[13:14]
	v_fma_f64 v[18:19], v[16:17], s[16:17], v[18:19]
	s_mov_b32 s16, 0x6a5dcb37
	s_mov_b32 s17, 0x3e5ade15
	v_cvt_i32_f64_e32 v16, v[16:17]
	v_add_f64 v[13:14], v[13:14], s[14:15]
	s_mov_b32 s14, 0xfca7ab0c
	s_mov_b32 s15, 0x3e928af3
	v_fma_f64 v[20:21], v[18:19], s[16:17], s[14:15]
	s_mov_b32 s14, 0x537c9ebc
	s_mov_b32 s16, 0x623fde64
	;; [unrolled: 1-line block ×4, first 2 shown]
	v_fma_f64 v[11:12], v[9:10], v[13:14], -v[11:12]
	v_fma_f64 v[20:21], v[18:19], v[20:21], s[16:17]
	s_mov_b32 s16, 0x14761f6e
	s_mov_b32 s17, 0x3f2a01a0
	v_add_f64 v[11:12], v[11:12], s[14:15]
	s_mov_b32 s14, 0x7c89e6b0
	s_mov_b32 s15, 0x3efa0199
	v_fma_f64 v[20:21], v[18:19], v[20:21], s[14:15]
	s_mov_b32 s14, 0xd536f53c
	s_mov_b32 s15, 0x3fba46da
	v_fma_f64 v[13:14], v[9:10], v[11:12], -v[13:14]
	v_fma_f64 v[20:21], v[18:19], v[20:21], s[16:17]
	s_mov_b32 s16, 0x11122322
	s_mov_b32 s17, 0x3f811111
	v_add_f64 v[13:14], v[13:14], s[14:15]
	s_mov_b32 s14, 0x1852b7b0
	s_mov_b32 s15, 0x3f56c16c
	v_fma_f64 v[20:21], v[18:19], v[20:21], s[14:15]
	s_mov_b32 s14, 0x469192e
	s_mov_b32 s15, 0xbfc694d1
	;; [unrolled: 10-line block ×3, first 2 shown]
	v_fma_f64 v[9:10], v[9:10], v[11:12], -v[13:14]
	v_fma_f64 v[11:12], v[18:19], v[20:21], s[16:17]
	v_add_f64 v[9:10], v[9:10], s[14:15]
	s_mov_b32 s14, 11
	s_mov_b32 s15, 0x3fe00000
	v_fma_f64 v[11:12], v[18:19], v[11:12], s[14:15]
	v_add_f64 v[9:10], v[9:10], -v[13:14]
	v_fma_f64 v[11:12], v[18:19], v[11:12], 1.0
	v_mul_f64 v[9:10], v[9:10], 0.5
	v_fma_f64 v[13:14], v[18:19], v[11:12], 1.0
	v_mul_f64 v[11:12], |v[1:2]|, v[9:10]
                                        ; implicit-def: $vgpr9_vgpr10
	v_cmpx_ngt_f64_e32 0, v[1:2]
	s_xor_b32 s5, exec_lo, s5
	s_cbranch_execz .LBB5_30
; %bb.29:
	v_ldexp_f64 v[9:10], v[13:14], v16
	v_cmp_nlt_f64_e64 vcc_lo, 0x40900000, |v[1:2]|
                                        ; implicit-def: $vgpr13_vgpr14
                                        ; implicit-def: $vgpr16
	v_cndmask_b32_e32 v2, 0x7ff00000, v10, vcc_lo
	v_cndmask_b32_e32 v1, 0, v9, vcc_lo
	v_mul_f64 v[9:10], v[1:2], v[11:12]
                                        ; implicit-def: $vgpr11_vgpr12
.LBB5_30:
	s_andn2_saveexec_b32 s5, s5
	s_cbranch_execz .LBB5_32
; %bb.31:
	v_ldexp_f64 v[9:10], -v[13:14], v16
	v_cmp_nlt_f64_e64 vcc_lo, 0x40900000, |v[1:2]|
	v_cndmask_b32_e32 v2, 0xfff00000, v10, vcc_lo
	v_cndmask_b32_e32 v1, 0, v9, vcc_lo
	v_mul_f64 v[9:10], v[1:2], v[11:12]
.LBB5_32:
	s_or_b32 exec_lo, exec_lo, s5
.LBB5_33:
	s_andn2_saveexec_b32 s5, s4
	s_cbranch_execz .LBB5_39
; %bb.34:
	v_and_b32_e32 v10, 0x7fffffff, v2
	v_mov_b32_e32 v9, v1
	s_mov_b32 s14, 0xea87b950
	s_mov_b32 s15, 0x3c545b8a
	;; [unrolled: 1-line block ×4, first 2 shown]
	v_div_scale_f64 v[11:12], null, v[9:10], v[9:10], 0x40400000
	v_div_scale_f64 v[9:10], vcc_lo, 0x40400000, v[9:10], 0x40400000
	v_cmp_ngt_f64_e64 s4, 0, v[1:2]
	v_rcp_f64_e32 v[13:14], v[11:12]
	v_fma_f64 v[16:17], -v[11:12], v[13:14], 1.0
	v_fma_f64 v[13:14], v[13:14], v[16:17], v[13:14]
	v_fma_f64 v[16:17], -v[11:12], v[13:14], 1.0
	v_fma_f64 v[13:14], v[13:14], v[16:17], v[13:14]
	v_mul_f64 v[16:17], v[9:10], v[13:14]
	v_fma_f64 v[9:10], -v[11:12], v[16:17], v[9:10]
	v_div_fmas_f64 v[9:10], v[9:10], v[13:14], v[16:17]
	v_cmp_nlt_f64_e64 vcc_lo, 0x40900000, |v[1:2]|
	v_div_fixup_f64 v[9:10], v[9:10], |v[1:2]|, 0x40400000
	v_add_f64 v[9:10], v[9:10], -2.0
	v_fma_f64 v[11:12], v[9:10], s[16:17], s[14:15]
	s_mov_b32 s17, 0xbc61556d
	s_mov_b32 s14, 0xb2532277
	;; [unrolled: 1-line block ×3, first 2 shown]
	v_fma_f64 v[13:14], v[9:10], v[11:12], s[16:17]
	s_mov_b32 s16, 0x6a5dcb37
	s_mov_b32 s17, 0x3e5ade15
	v_add_f64 v[13:14], v[13:14], s[14:15]
	s_mov_b32 s14, 0x9c773320
	s_mov_b32 s15, 0xbc82806c
	v_fma_f64 v[11:12], v[9:10], v[13:14], -v[11:12]
	v_add_f64 v[11:12], v[11:12], s[14:15]
	s_mov_b32 s14, 0xfceb588a
	s_mov_b32 s15, 0x3cb55915
	v_fma_f64 v[13:14], v[9:10], v[11:12], -v[13:14]
	;; [unrolled: 4-line block ×14, first 2 shown]
	v_add_f64 v[13:14], v[13:14], s[14:15]
	s_mov_b32 s14, 0x652b82fe
	s_mov_b32 s15, 0x3ff71547
	v_mul_f64 v[16:17], |v[1:2]|, s[14:15]
	s_mov_b32 s14, 0x5423dd80
	s_mov_b32 s15, 0xbe0334ca
	v_fma_f64 v[11:12], v[9:10], v[13:14], -v[11:12]
	v_rndne_f64_e32 v[16:17], v[16:17]
	v_add_f64 v[11:12], v[11:12], s[14:15]
	s_mov_b32 s14, 0xfefa39ef
	s_mov_b32 s15, 0xbfe62e42
	v_fma_f64 v[18:19], v[16:17], s[14:15], |v[1:2]|
	s_mov_b32 s14, 0x9ad53528
	s_mov_b32 s15, 0xbe30790b
	v_fma_f64 v[13:14], v[9:10], v[11:12], -v[13:14]
	v_add_f64 v[13:14], v[13:14], s[14:15]
	s_mov_b32 s14, 0x3b39803f
	s_mov_b32 s15, 0xbc7abc9e
	v_fma_f64 v[18:19], v[16:17], s[14:15], v[18:19]
	s_mov_b32 s14, 0xfca7ab0c
	s_mov_b32 s15, 0x3e928af3
	v_cvt_i32_f64_e32 v16, v[16:17]
	v_fma_f64 v[11:12], v[9:10], v[13:14], -v[11:12]
	v_fma_f64 v[20:21], v[18:19], s[16:17], s[14:15]
	s_mov_b32 s14, 0x94bb46c1
	s_mov_b32 s15, 0xbe5c4153
	v_add_f64 v[11:12], v[11:12], s[14:15]
	s_mov_b32 s14, 0x623fde64
	s_mov_b32 s15, 0x3ec71dee
	v_fma_f64 v[20:21], v[18:19], v[20:21], s[14:15]
	s_mov_b32 s14, 0x7c89e6b0
	s_mov_b32 s15, 0x3efa0199
	v_fma_f64 v[13:14], v[9:10], v[11:12], -v[13:14]
	v_fma_f64 v[20:21], v[18:19], v[20:21], s[14:15]
	s_mov_b32 s14, 0x2e9e5443
	s_mov_b32 s15, 0xbe90dbfd
	v_add_f64 v[13:14], v[13:14], s[14:15]
	s_mov_b32 s14, 0x14761f6e
	s_mov_b32 s15, 0x3f2a01a0
	v_fma_f64 v[20:21], v[18:19], v[20:21], s[14:15]
	s_mov_b32 s14, 0x1852b7b0
	s_mov_b32 s15, 0x3f56c16c
	;; [unrolled: 10-line block ×4, first 2 shown]
	v_fma_f64 v[11:12], v[9:10], v[13:14], -v[11:12]
	v_fma_f64 v[20:21], v[18:19], v[20:21], s[14:15]
	s_mov_b32 s14, 0x53fcdb4c
	s_mov_b32 s15, 0xbf83fda0
	v_add_f64 v[11:12], v[11:12], s[14:15]
	s_mov_b32 s14, 0xb55b1514
	s_mov_b32 s15, 0x3fe8ea18
	v_fma_f64 v[20:21], v[18:19], v[20:21], 1.0
	v_fma_f64 v[9:10], v[9:10], v[11:12], -v[13:14]
	v_fma_f64 v[11:12], v[18:19], v[20:21], 1.0
	v_add_f64 v[9:10], v[9:10], s[14:15]
	v_ldexp_f64 v[11:12], v[11:12], v16
	v_add_f64 v[13:14], v[9:10], -v[13:14]
                                        ; implicit-def: $vgpr9_vgpr10
	v_cndmask_b32_e32 v12, 0x7ff00000, v12, vcc_lo
	v_cndmask_b32_e32 v11, 0, v11, vcc_lo
	s_and_saveexec_b32 s14, s4
	s_xor_b32 s4, exec_lo, s14
	s_cbranch_execz .LBB5_36
; %bb.35:
	v_cmp_gt_f64_e64 s14, 0x10000000, |v[1:2]|
	v_mul_f64 v[13:14], v[13:14], 0.5
	v_cndmask_b32_e64 v9, 0, 0x100, s14
	v_mul_f64 v[11:12], v[11:12], v[13:14]
	v_ldexp_f64 v[1:2], |v[1:2]|, v9
	v_rsq_f64_e32 v[9:10], v[1:2]
	v_cmp_class_f64_e64 vcc_lo, v[1:2], 0x260
	v_mul_f64 v[16:17], v[1:2], v[9:10]
	v_mul_f64 v[9:10], v[9:10], 0.5
	v_fma_f64 v[18:19], -v[9:10], v[16:17], 0.5
	v_fma_f64 v[16:17], v[16:17], v[18:19], v[16:17]
	v_fma_f64 v[9:10], v[9:10], v[18:19], v[9:10]
	v_fma_f64 v[18:19], -v[16:17], v[16:17], v[1:2]
	v_fma_f64 v[16:17], v[18:19], v[9:10], v[16:17]
	v_fma_f64 v[18:19], -v[16:17], v[16:17], v[1:2]
	v_fma_f64 v[9:10], v[18:19], v[9:10], v[16:17]
	v_cndmask_b32_e64 v16, 0, 0xffffff80, s14
	v_ldexp_f64 v[9:10], v[9:10], v16
	v_cndmask_b32_e32 v2, v10, v2, vcc_lo
	v_cndmask_b32_e32 v1, v9, v1, vcc_lo
	v_div_scale_f64 v[9:10], null, v[1:2], v[1:2], v[11:12]
	v_rcp_f64_e32 v[13:14], v[9:10]
	v_fma_f64 v[16:17], -v[9:10], v[13:14], 1.0
	v_fma_f64 v[13:14], v[13:14], v[16:17], v[13:14]
	v_fma_f64 v[16:17], -v[9:10], v[13:14], 1.0
	v_fma_f64 v[13:14], v[13:14], v[16:17], v[13:14]
	v_div_scale_f64 v[16:17], vcc_lo, v[11:12], v[1:2], v[11:12]
	v_mul_f64 v[18:19], v[16:17], v[13:14]
	v_fma_f64 v[9:10], -v[9:10], v[18:19], v[16:17]
	v_div_fmas_f64 v[9:10], v[9:10], v[13:14], v[18:19]
                                        ; implicit-def: $vgpr13_vgpr14
	v_div_fixup_f64 v[9:10], v[9:10], v[1:2], v[11:12]
                                        ; implicit-def: $vgpr11_vgpr12
.LBB5_36:
	s_andn2_saveexec_b32 s4, s4
	s_cbranch_execz .LBB5_38
; %bb.37:
	v_cmp_gt_f64_e64 s14, 0x10000000, |v[1:2]|
	v_mul_f64 v[13:14], v[13:14], -0.5
	v_cndmask_b32_e64 v9, 0, 0x100, s14
	v_mul_f64 v[11:12], v[11:12], v[13:14]
	v_ldexp_f64 v[1:2], |v[1:2]|, v9
	v_rsq_f64_e32 v[9:10], v[1:2]
	v_cmp_class_f64_e64 vcc_lo, v[1:2], 0x260
	v_mul_f64 v[16:17], v[1:2], v[9:10]
	v_mul_f64 v[9:10], v[9:10], 0.5
	v_fma_f64 v[18:19], -v[9:10], v[16:17], 0.5
	v_fma_f64 v[16:17], v[16:17], v[18:19], v[16:17]
	v_fma_f64 v[9:10], v[9:10], v[18:19], v[9:10]
	v_fma_f64 v[18:19], -v[16:17], v[16:17], v[1:2]
	v_fma_f64 v[16:17], v[18:19], v[9:10], v[16:17]
	v_fma_f64 v[18:19], -v[16:17], v[16:17], v[1:2]
	v_fma_f64 v[9:10], v[18:19], v[9:10], v[16:17]
	v_cndmask_b32_e64 v16, 0, 0xffffff80, s14
	v_ldexp_f64 v[9:10], v[9:10], v16
	v_cndmask_b32_e32 v2, v10, v2, vcc_lo
	v_cndmask_b32_e32 v1, v9, v1, vcc_lo
	v_div_scale_f64 v[9:10], null, v[1:2], v[1:2], v[11:12]
	v_rcp_f64_e32 v[13:14], v[9:10]
	v_fma_f64 v[16:17], -v[9:10], v[13:14], 1.0
	v_fma_f64 v[13:14], v[13:14], v[16:17], v[13:14]
	v_fma_f64 v[16:17], -v[9:10], v[13:14], 1.0
	v_fma_f64 v[13:14], v[13:14], v[16:17], v[13:14]
	v_div_scale_f64 v[16:17], vcc_lo, v[11:12], v[1:2], v[11:12]
	v_mul_f64 v[18:19], v[16:17], v[13:14]
	v_fma_f64 v[9:10], -v[9:10], v[18:19], v[16:17]
	v_div_fmas_f64 v[9:10], v[9:10], v[13:14], v[18:19]
	v_div_fixup_f64 v[9:10], v[9:10], v[1:2], v[11:12]
.LBB5_38:
	s_or_b32 exec_lo, exec_lo, s4
.LBB5_39:
	s_or_b32 exec_lo, exec_lo, s5
	v_cmp_ge_f64_e64 s4, 0x40200000, |v[3:4]|
	s_and_saveexec_b32 s5, s4
	s_xor_b32 s4, exec_lo, s5
	s_cbranch_execz .LBB5_45
; %bb.40:
	v_fma_f64 v[1:2], |v[3:4]|, 0.5, -2.0
	s_mov_b32 s14, 0xc38a0576
	s_mov_b32 s15, 0xbc7857d0
	;; [unrolled: 1-line block ×4, first 2 shown]
	s_mov_b32 s5, exec_lo
	v_fma_f64 v[11:12], v[1:2], s[16:17], s[14:15]
	s_mov_b32 s17, 0xbc499f2a
	s_mov_b32 s14, 0xe593bfac
	;; [unrolled: 1-line block ×3, first 2 shown]
	v_fma_f64 v[13:14], v[1:2], v[11:12], s[16:17]
	s_mov_b32 s16, 0x3b39803f
	s_mov_b32 s17, 0xbc7abc9e
	v_add_f64 v[13:14], v[13:14], s[14:15]
	s_mov_b32 s14, 0x7e0d1573
	s_mov_b32 s15, 0xbcd3eaaa
	v_fma_f64 v[11:12], v[1:2], v[13:14], -v[11:12]
	v_add_f64 v[11:12], v[11:12], s[14:15]
	s_mov_b32 s14, 0x615290c
	s_mov_b32 s15, 0x3d011d7f
	v_fma_f64 v[13:14], v[1:2], v[11:12], -v[13:14]
	;; [unrolled: 4-line block ×20, first 2 shown]
	v_add_f64 v[13:14], v[13:14], s[14:15]
	s_mov_b32 s14, 0x652b82fe
	s_mov_b32 s15, 0x3ff71547
	v_mul_f64 v[16:17], |v[3:4]|, s[14:15]
	s_mov_b32 s14, 0x7913a26a
	s_mov_b32 s15, 0xbf85a29f
	v_fma_f64 v[11:12], v[1:2], v[13:14], -v[11:12]
	v_rndne_f64_e32 v[16:17], v[16:17]
	v_add_f64 v[11:12], v[11:12], s[14:15]
	s_mov_b32 s14, 0xfefa39ef
	s_mov_b32 s15, 0xbfe62e42
	v_fma_f64 v[18:19], v[16:17], s[14:15], |v[3:4]|
	s_mov_b32 s14, 0xe7bb2349
	s_mov_b32 s15, 0x3f9951e3
	v_fma_f64 v[13:14], v[1:2], v[11:12], -v[13:14]
	v_fma_f64 v[18:19], v[16:17], s[16:17], v[18:19]
	s_mov_b32 s16, 0x6a5dcb37
	s_mov_b32 s17, 0x3e5ade15
	v_cvt_i32_f64_e32 v16, v[16:17]
	v_add_f64 v[13:14], v[13:14], s[14:15]
	s_mov_b32 s14, 0xfca7ab0c
	s_mov_b32 s15, 0x3e928af3
	v_fma_f64 v[20:21], v[18:19], s[16:17], s[14:15]
	s_mov_b32 s14, 0x537c9ebc
	s_mov_b32 s16, 0x623fde64
	;; [unrolled: 1-line block ×4, first 2 shown]
	v_fma_f64 v[11:12], v[1:2], v[13:14], -v[11:12]
	v_fma_f64 v[20:21], v[18:19], v[20:21], s[16:17]
	s_mov_b32 s16, 0x14761f6e
	s_mov_b32 s17, 0x3f2a01a0
	v_add_f64 v[11:12], v[11:12], s[14:15]
	s_mov_b32 s14, 0x7c89e6b0
	s_mov_b32 s15, 0x3efa0199
	v_fma_f64 v[20:21], v[18:19], v[20:21], s[14:15]
	s_mov_b32 s14, 0xd536f53c
	s_mov_b32 s15, 0x3fba46da
	v_fma_f64 v[13:14], v[1:2], v[11:12], -v[13:14]
	v_fma_f64 v[20:21], v[18:19], v[20:21], s[16:17]
	s_mov_b32 s16, 0x11122322
	s_mov_b32 s17, 0x3f811111
	v_add_f64 v[13:14], v[13:14], s[14:15]
	s_mov_b32 s14, 0x1852b7b0
	s_mov_b32 s15, 0x3f56c16c
	v_fma_f64 v[20:21], v[18:19], v[20:21], s[14:15]
	s_mov_b32 s14, 0x469192e
	s_mov_b32 s15, 0xbfc694d1
	;; [unrolled: 10-line block ×3, first 2 shown]
	v_fma_f64 v[1:2], v[1:2], v[11:12], -v[13:14]
	v_fma_f64 v[11:12], v[18:19], v[20:21], s[16:17]
	v_add_f64 v[1:2], v[1:2], s[14:15]
	s_mov_b32 s14, 11
	s_mov_b32 s15, 0x3fe00000
	v_fma_f64 v[11:12], v[18:19], v[11:12], s[14:15]
	v_add_f64 v[1:2], v[1:2], -v[13:14]
	v_fma_f64 v[11:12], v[18:19], v[11:12], 1.0
	v_mul_f64 v[1:2], v[1:2], 0.5
	v_fma_f64 v[13:14], v[18:19], v[11:12], 1.0
	v_mul_f64 v[1:2], |v[3:4]|, v[1:2]
	v_cmpx_ngt_f64_e32 0, v[3:4]
	s_xor_b32 s5, exec_lo, s5
	s_cbranch_execz .LBB5_42
; %bb.41:
	v_ldexp_f64 v[11:12], v[13:14], v16
	v_cmp_nlt_f64_e64 vcc_lo, 0x40900000, |v[3:4]|
                                        ; implicit-def: $vgpr13_vgpr14
                                        ; implicit-def: $vgpr16
	v_cndmask_b32_e32 v4, 0x7ff00000, v12, vcc_lo
	v_cndmask_b32_e32 v3, 0, v11, vcc_lo
	v_mul_f64 v[11:12], v[3:4], v[1:2]
                                        ; implicit-def: $vgpr3_vgpr4
                                        ; implicit-def: $vgpr1_vgpr2
.LBB5_42:
	s_andn2_saveexec_b32 s5, s5
	s_cbranch_execz .LBB5_44
; %bb.43:
	v_ldexp_f64 v[11:12], -v[13:14], v16
	v_cmp_nlt_f64_e64 vcc_lo, 0x40900000, |v[3:4]|
	v_cndmask_b32_e32 v4, 0xfff00000, v12, vcc_lo
	v_cndmask_b32_e32 v3, 0, v11, vcc_lo
	v_mul_f64 v[11:12], v[3:4], v[1:2]
.LBB5_44:
	s_or_b32 exec_lo, exec_lo, s5
                                        ; implicit-def: $vgpr3_vgpr4
.LBB5_45:
	s_andn2_saveexec_b32 s5, s4
	s_cbranch_execz .LBB5_51
; %bb.46:
	v_and_b32_e32 v2, 0x7fffffff, v4
	v_mov_b32_e32 v1, v3
	s_mov_b32 s14, 0xea87b950
	s_mov_b32 s15, 0x3c545b8a
	;; [unrolled: 1-line block ×4, first 2 shown]
	v_div_scale_f64 v[11:12], null, v[1:2], v[1:2], 0x40400000
	v_div_scale_f64 v[1:2], vcc_lo, 0x40400000, v[1:2], 0x40400000
	v_cmp_ngt_f64_e64 s4, 0, v[3:4]
	v_rcp_f64_e32 v[13:14], v[11:12]
	v_fma_f64 v[16:17], -v[11:12], v[13:14], 1.0
	v_fma_f64 v[13:14], v[13:14], v[16:17], v[13:14]
	v_fma_f64 v[16:17], -v[11:12], v[13:14], 1.0
	v_fma_f64 v[13:14], v[13:14], v[16:17], v[13:14]
	v_mul_f64 v[16:17], v[1:2], v[13:14]
	v_fma_f64 v[1:2], -v[11:12], v[16:17], v[1:2]
	v_div_fmas_f64 v[1:2], v[1:2], v[13:14], v[16:17]
	v_cmp_nlt_f64_e64 vcc_lo, 0x40900000, |v[3:4]|
	v_div_fixup_f64 v[1:2], v[1:2], |v[3:4]|, 0x40400000
	v_add_f64 v[1:2], v[1:2], -2.0
	v_fma_f64 v[11:12], v[1:2], s[16:17], s[14:15]
	s_mov_b32 s17, 0xbc61556d
	s_mov_b32 s14, 0xb2532277
	;; [unrolled: 1-line block ×3, first 2 shown]
	v_fma_f64 v[13:14], v[1:2], v[11:12], s[16:17]
	s_mov_b32 s16, 0x6a5dcb37
	s_mov_b32 s17, 0x3e5ade15
	v_add_f64 v[13:14], v[13:14], s[14:15]
	s_mov_b32 s14, 0x9c773320
	s_mov_b32 s15, 0xbc82806c
	v_fma_f64 v[11:12], v[1:2], v[13:14], -v[11:12]
	v_add_f64 v[11:12], v[11:12], s[14:15]
	s_mov_b32 s14, 0xfceb588a
	s_mov_b32 s15, 0x3cb55915
	v_fma_f64 v[13:14], v[1:2], v[11:12], -v[13:14]
	;; [unrolled: 4-line block ×14, first 2 shown]
	v_add_f64 v[13:14], v[13:14], s[14:15]
	s_mov_b32 s14, 0x652b82fe
	s_mov_b32 s15, 0x3ff71547
	v_mul_f64 v[16:17], |v[3:4]|, s[14:15]
	s_mov_b32 s14, 0x5423dd80
	s_mov_b32 s15, 0xbe0334ca
	v_fma_f64 v[11:12], v[1:2], v[13:14], -v[11:12]
	v_rndne_f64_e32 v[16:17], v[16:17]
	v_add_f64 v[11:12], v[11:12], s[14:15]
	s_mov_b32 s14, 0xfefa39ef
	s_mov_b32 s15, 0xbfe62e42
	v_fma_f64 v[18:19], v[16:17], s[14:15], |v[3:4]|
	s_mov_b32 s14, 0x9ad53528
	s_mov_b32 s15, 0xbe30790b
	v_fma_f64 v[13:14], v[1:2], v[11:12], -v[13:14]
	v_add_f64 v[13:14], v[13:14], s[14:15]
	s_mov_b32 s14, 0x3b39803f
	s_mov_b32 s15, 0xbc7abc9e
	v_fma_f64 v[18:19], v[16:17], s[14:15], v[18:19]
	s_mov_b32 s14, 0xfca7ab0c
	s_mov_b32 s15, 0x3e928af3
	v_cvt_i32_f64_e32 v16, v[16:17]
	v_fma_f64 v[11:12], v[1:2], v[13:14], -v[11:12]
	v_fma_f64 v[20:21], v[18:19], s[16:17], s[14:15]
	s_mov_b32 s14, 0x94bb46c1
	s_mov_b32 s15, 0xbe5c4153
	v_add_f64 v[11:12], v[11:12], s[14:15]
	s_mov_b32 s14, 0x623fde64
	s_mov_b32 s15, 0x3ec71dee
	v_fma_f64 v[20:21], v[18:19], v[20:21], s[14:15]
	s_mov_b32 s14, 0x7c89e6b0
	s_mov_b32 s15, 0x3efa0199
	v_fma_f64 v[13:14], v[1:2], v[11:12], -v[13:14]
	v_fma_f64 v[20:21], v[18:19], v[20:21], s[14:15]
	s_mov_b32 s14, 0x2e9e5443
	s_mov_b32 s15, 0xbe90dbfd
	v_add_f64 v[13:14], v[13:14], s[14:15]
	s_mov_b32 s14, 0x14761f6e
	s_mov_b32 s15, 0x3f2a01a0
	v_fma_f64 v[20:21], v[18:19], v[20:21], s[14:15]
	s_mov_b32 s14, 0x1852b7b0
	s_mov_b32 s15, 0x3f56c16c
	;; [unrolled: 10-line block ×4, first 2 shown]
	v_fma_f64 v[11:12], v[1:2], v[13:14], -v[11:12]
	v_fma_f64 v[20:21], v[18:19], v[20:21], s[14:15]
	s_mov_b32 s14, 0x53fcdb4c
	s_mov_b32 s15, 0xbf83fda0
	v_add_f64 v[11:12], v[11:12], s[14:15]
	s_mov_b32 s14, 0xb55b1514
	s_mov_b32 s15, 0x3fe8ea18
	v_fma_f64 v[20:21], v[18:19], v[20:21], 1.0
	v_fma_f64 v[1:2], v[1:2], v[11:12], -v[13:14]
	v_fma_f64 v[11:12], v[18:19], v[20:21], 1.0
	v_add_f64 v[1:2], v[1:2], s[14:15]
	v_ldexp_f64 v[11:12], v[11:12], v16
	v_add_f64 v[13:14], v[1:2], -v[13:14]
	v_cndmask_b32_e32 v2, 0x7ff00000, v12, vcc_lo
	v_cndmask_b32_e32 v1, 0, v11, vcc_lo
	s_and_saveexec_b32 s14, s4
	s_xor_b32 s4, exec_lo, s14
	s_cbranch_execz .LBB5_48
; %bb.47:
	v_cmp_gt_f64_e64 s14, 0x10000000, |v[3:4]|
	v_mul_f64 v[13:14], v[13:14], 0.5
	v_cndmask_b32_e64 v11, 0, 0x100, s14
	v_mul_f64 v[1:2], v[1:2], v[13:14]
	v_ldexp_f64 v[3:4], |v[3:4]|, v11
	v_rsq_f64_e32 v[11:12], v[3:4]
	v_cmp_class_f64_e64 vcc_lo, v[3:4], 0x260
	v_mul_f64 v[16:17], v[3:4], v[11:12]
	v_mul_f64 v[11:12], v[11:12], 0.5
	v_fma_f64 v[18:19], -v[11:12], v[16:17], 0.5
	v_fma_f64 v[16:17], v[16:17], v[18:19], v[16:17]
	v_fma_f64 v[11:12], v[11:12], v[18:19], v[11:12]
	v_fma_f64 v[18:19], -v[16:17], v[16:17], v[3:4]
	v_fma_f64 v[16:17], v[18:19], v[11:12], v[16:17]
	v_fma_f64 v[18:19], -v[16:17], v[16:17], v[3:4]
	v_fma_f64 v[11:12], v[18:19], v[11:12], v[16:17]
	v_cndmask_b32_e64 v16, 0, 0xffffff80, s14
	v_ldexp_f64 v[11:12], v[11:12], v16
	v_cndmask_b32_e32 v4, v12, v4, vcc_lo
	v_cndmask_b32_e32 v3, v11, v3, vcc_lo
	v_div_scale_f64 v[11:12], null, v[3:4], v[3:4], v[1:2]
	v_rcp_f64_e32 v[13:14], v[11:12]
	v_fma_f64 v[16:17], -v[11:12], v[13:14], 1.0
	v_fma_f64 v[13:14], v[13:14], v[16:17], v[13:14]
	v_fma_f64 v[16:17], -v[11:12], v[13:14], 1.0
	v_fma_f64 v[13:14], v[13:14], v[16:17], v[13:14]
	v_div_scale_f64 v[16:17], vcc_lo, v[1:2], v[3:4], v[1:2]
	v_mul_f64 v[18:19], v[16:17], v[13:14]
	v_fma_f64 v[11:12], -v[11:12], v[18:19], v[16:17]
	v_div_fmas_f64 v[11:12], v[11:12], v[13:14], v[18:19]
                                        ; implicit-def: $vgpr13_vgpr14
	v_div_fixup_f64 v[11:12], v[11:12], v[3:4], v[1:2]
                                        ; implicit-def: $vgpr3_vgpr4
                                        ; implicit-def: $vgpr1_vgpr2
.LBB5_48:
	s_andn2_saveexec_b32 s4, s4
	s_cbranch_execz .LBB5_50
; %bb.49:
	v_cmp_gt_f64_e64 s14, 0x10000000, |v[3:4]|
	v_mul_f64 v[13:14], v[13:14], -0.5
	v_cndmask_b32_e64 v11, 0, 0x100, s14
	v_mul_f64 v[1:2], v[1:2], v[13:14]
	v_ldexp_f64 v[3:4], |v[3:4]|, v11
	v_rsq_f64_e32 v[11:12], v[3:4]
	v_cmp_class_f64_e64 vcc_lo, v[3:4], 0x260
	v_mul_f64 v[16:17], v[3:4], v[11:12]
	v_mul_f64 v[11:12], v[11:12], 0.5
	v_fma_f64 v[18:19], -v[11:12], v[16:17], 0.5
	v_fma_f64 v[16:17], v[16:17], v[18:19], v[16:17]
	v_fma_f64 v[11:12], v[11:12], v[18:19], v[11:12]
	v_fma_f64 v[18:19], -v[16:17], v[16:17], v[3:4]
	v_fma_f64 v[16:17], v[18:19], v[11:12], v[16:17]
	v_fma_f64 v[18:19], -v[16:17], v[16:17], v[3:4]
	v_fma_f64 v[11:12], v[18:19], v[11:12], v[16:17]
	v_cndmask_b32_e64 v16, 0, 0xffffff80, s14
	v_ldexp_f64 v[11:12], v[11:12], v16
	v_cndmask_b32_e32 v4, v12, v4, vcc_lo
	v_cndmask_b32_e32 v3, v11, v3, vcc_lo
	v_div_scale_f64 v[11:12], null, v[3:4], v[3:4], v[1:2]
	v_rcp_f64_e32 v[13:14], v[11:12]
	v_fma_f64 v[16:17], -v[11:12], v[13:14], 1.0
	v_fma_f64 v[13:14], v[13:14], v[16:17], v[13:14]
	v_fma_f64 v[16:17], -v[11:12], v[13:14], 1.0
	v_fma_f64 v[13:14], v[13:14], v[16:17], v[13:14]
	v_div_scale_f64 v[16:17], vcc_lo, v[1:2], v[3:4], v[1:2]
	v_mul_f64 v[18:19], v[16:17], v[13:14]
	v_fma_f64 v[11:12], -v[11:12], v[18:19], v[16:17]
	v_div_fmas_f64 v[11:12], v[11:12], v[13:14], v[18:19]
	v_div_fixup_f64 v[11:12], v[11:12], v[3:4], v[1:2]
.LBB5_50:
	s_or_b32 exec_lo, exec_lo, s4
.LBB5_51:
	s_or_b32 exec_lo, exec_lo, s5
	s_add_u32 s4, s8, s12
	s_addc_u32 s5, s9, s13
	v_add_co_u32 v1, s12, s4, v15
	v_add_co_ci_u32_e64 v2, null, s5, 0, s12
	global_store_dwordx4 v15, v[5:8], s[4:5]
	v_add_co_u32 v1, vcc_lo, 0x1000, v1
	v_add_co_ci_u32_e64 v2, null, 0, v2, vcc_lo
	global_store_dwordx4 v[1:2], v[9:12], off
	s_branch .LBB5_2
.LBB5_52:
	v_mov_b32_e32 v31, v0
	v_mov_b32_e32 v0, s8
	;; [unrolled: 1-line block ×6, first 2 shown]
	s_getpc_b64 s[4:5]
	s_add_u32 s4, s4, _ZN2at6native25elementwise_kernel_helperILb0EZZZNS0_12_GLOBAL__N_130modified_bessel_i1_kernel_cudaERNS_18TensorIteratorBaseEENKUlvE_clEvENKUlvE_clEvEUldE_NS0_6memory8policies11unroll_baseILi256ESt5arrayIPcLm2EE23TrivialOffsetCalculatorILi1EjESF_NS8_15LoadWithoutCastENS8_16StoreWithoutCastELi4ELi1EEEEEvT0_T1_@rel32@lo+4
	s_addc_u32 s5, s5, _ZN2at6native25elementwise_kernel_helperILb0EZZZNS0_12_GLOBAL__N_130modified_bessel_i1_kernel_cudaERNS_18TensorIteratorBaseEENKUlvE_clEvENKUlvE_clEvEUldE_NS0_6memory8policies11unroll_baseILi256ESt5arrayIPcLm2EE23TrivialOffsetCalculatorILi1EjESF_NS8_15LoadWithoutCastENS8_16StoreWithoutCastELi4ELi1EEEEEvT0_T1_@rel32@hi+12
	s_mov_b32 s12, s6
	s_swappc_b64 s[30:31], s[4:5]
	s_endpgm
	.section	.rodata,"a",@progbits
	.p2align	6, 0x0
	.amdhsa_kernel _ZN2at6native29vectorized_elementwise_kernelILi2EZZZNS0_12_GLOBAL__N_130modified_bessel_i1_kernel_cudaERNS_18TensorIteratorBaseEENKUlvE_clEvENKUlvE_clEvEUldE_St5arrayIPcLm2EEEEviT0_T1_
		.amdhsa_group_segment_fixed_size 0
		.amdhsa_private_segment_fixed_size 0
		.amdhsa_kernarg_size 24
		.amdhsa_user_sgpr_count 6
		.amdhsa_user_sgpr_private_segment_buffer 1
		.amdhsa_user_sgpr_dispatch_ptr 0
		.amdhsa_user_sgpr_queue_ptr 0
		.amdhsa_user_sgpr_kernarg_segment_ptr 1
		.amdhsa_user_sgpr_dispatch_id 0
		.amdhsa_user_sgpr_flat_scratch_init 0
		.amdhsa_user_sgpr_private_segment_size 0
		.amdhsa_wavefront_size32 1
		.amdhsa_uses_dynamic_stack 0
		.amdhsa_system_sgpr_private_segment_wavefront_offset 0
		.amdhsa_system_sgpr_workgroup_id_x 1
		.amdhsa_system_sgpr_workgroup_id_y 0
		.amdhsa_system_sgpr_workgroup_id_z 0
		.amdhsa_system_sgpr_workgroup_info 0
		.amdhsa_system_vgpr_workitem_id 0
		.amdhsa_next_free_vgpr 32
		.amdhsa_next_free_sgpr 33
		.amdhsa_reserve_vcc 1
		.amdhsa_reserve_flat_scratch 0
		.amdhsa_float_round_mode_32 0
		.amdhsa_float_round_mode_16_64 0
		.amdhsa_float_denorm_mode_32 3
		.amdhsa_float_denorm_mode_16_64 3
		.amdhsa_dx10_clamp 1
		.amdhsa_ieee_mode 1
		.amdhsa_fp16_overflow 0
		.amdhsa_workgroup_processor_mode 1
		.amdhsa_memory_ordered 1
		.amdhsa_forward_progress 1
		.amdhsa_shared_vgpr_count 0
		.amdhsa_exception_fp_ieee_invalid_op 0
		.amdhsa_exception_fp_denorm_src 0
		.amdhsa_exception_fp_ieee_div_zero 0
		.amdhsa_exception_fp_ieee_overflow 0
		.amdhsa_exception_fp_ieee_underflow 0
		.amdhsa_exception_fp_ieee_inexact 0
		.amdhsa_exception_int_div_zero 0
	.end_amdhsa_kernel
	.section	.text._ZN2at6native29vectorized_elementwise_kernelILi2EZZZNS0_12_GLOBAL__N_130modified_bessel_i1_kernel_cudaERNS_18TensorIteratorBaseEENKUlvE_clEvENKUlvE_clEvEUldE_St5arrayIPcLm2EEEEviT0_T1_,"axG",@progbits,_ZN2at6native29vectorized_elementwise_kernelILi2EZZZNS0_12_GLOBAL__N_130modified_bessel_i1_kernel_cudaERNS_18TensorIteratorBaseEENKUlvE_clEvENKUlvE_clEvEUldE_St5arrayIPcLm2EEEEviT0_T1_,comdat
.Lfunc_end5:
	.size	_ZN2at6native29vectorized_elementwise_kernelILi2EZZZNS0_12_GLOBAL__N_130modified_bessel_i1_kernel_cudaERNS_18TensorIteratorBaseEENKUlvE_clEvENKUlvE_clEvEUldE_St5arrayIPcLm2EEEEviT0_T1_, .Lfunc_end5-_ZN2at6native29vectorized_elementwise_kernelILi2EZZZNS0_12_GLOBAL__N_130modified_bessel_i1_kernel_cudaERNS_18TensorIteratorBaseEENKUlvE_clEvENKUlvE_clEvEUldE_St5arrayIPcLm2EEEEviT0_T1_
                                        ; -- End function
	.set _ZN2at6native29vectorized_elementwise_kernelILi2EZZZNS0_12_GLOBAL__N_130modified_bessel_i1_kernel_cudaERNS_18TensorIteratorBaseEENKUlvE_clEvENKUlvE_clEvEUldE_St5arrayIPcLm2EEEEviT0_T1_.num_vgpr, max(32, .L_ZN2at6native25elementwise_kernel_helperILb0EZZZNS0_12_GLOBAL__N_130modified_bessel_i1_kernel_cudaERNS_18TensorIteratorBaseEENKUlvE_clEvENKUlvE_clEvEUldE_NS0_6memory8policies11unroll_baseILi256ESt5arrayIPcLm2EE23TrivialOffsetCalculatorILi1EjESF_NS8_15LoadWithoutCastENS8_16StoreWithoutCastELi4ELi1EEEEEvT0_T1_.num_vgpr)
	.set _ZN2at6native29vectorized_elementwise_kernelILi2EZZZNS0_12_GLOBAL__N_130modified_bessel_i1_kernel_cudaERNS_18TensorIteratorBaseEENKUlvE_clEvENKUlvE_clEvEUldE_St5arrayIPcLm2EEEEviT0_T1_.num_agpr, max(0, .L_ZN2at6native25elementwise_kernel_helperILb0EZZZNS0_12_GLOBAL__N_130modified_bessel_i1_kernel_cudaERNS_18TensorIteratorBaseEENKUlvE_clEvENKUlvE_clEvEUldE_NS0_6memory8policies11unroll_baseILi256ESt5arrayIPcLm2EE23TrivialOffsetCalculatorILi1EjESF_NS8_15LoadWithoutCastENS8_16StoreWithoutCastELi4ELi1EEEEEvT0_T1_.num_agpr)
	.set _ZN2at6native29vectorized_elementwise_kernelILi2EZZZNS0_12_GLOBAL__N_130modified_bessel_i1_kernel_cudaERNS_18TensorIteratorBaseEENKUlvE_clEvENKUlvE_clEvEUldE_St5arrayIPcLm2EEEEviT0_T1_.numbered_sgpr, max(33, .L_ZN2at6native25elementwise_kernel_helperILb0EZZZNS0_12_GLOBAL__N_130modified_bessel_i1_kernel_cudaERNS_18TensorIteratorBaseEENKUlvE_clEvENKUlvE_clEvEUldE_NS0_6memory8policies11unroll_baseILi256ESt5arrayIPcLm2EE23TrivialOffsetCalculatorILi1EjESF_NS8_15LoadWithoutCastENS8_16StoreWithoutCastELi4ELi1EEEEEvT0_T1_.numbered_sgpr)
	.set _ZN2at6native29vectorized_elementwise_kernelILi2EZZZNS0_12_GLOBAL__N_130modified_bessel_i1_kernel_cudaERNS_18TensorIteratorBaseEENKUlvE_clEvENKUlvE_clEvEUldE_St5arrayIPcLm2EEEEviT0_T1_.num_named_barrier, max(0, .L_ZN2at6native25elementwise_kernel_helperILb0EZZZNS0_12_GLOBAL__N_130modified_bessel_i1_kernel_cudaERNS_18TensorIteratorBaseEENKUlvE_clEvENKUlvE_clEvEUldE_NS0_6memory8policies11unroll_baseILi256ESt5arrayIPcLm2EE23TrivialOffsetCalculatorILi1EjESF_NS8_15LoadWithoutCastENS8_16StoreWithoutCastELi4ELi1EEEEEvT0_T1_.num_named_barrier)
	.set _ZN2at6native29vectorized_elementwise_kernelILi2EZZZNS0_12_GLOBAL__N_130modified_bessel_i1_kernel_cudaERNS_18TensorIteratorBaseEENKUlvE_clEvENKUlvE_clEvEUldE_St5arrayIPcLm2EEEEviT0_T1_.private_seg_size, 0+max(.L_ZN2at6native25elementwise_kernel_helperILb0EZZZNS0_12_GLOBAL__N_130modified_bessel_i1_kernel_cudaERNS_18TensorIteratorBaseEENKUlvE_clEvENKUlvE_clEvEUldE_NS0_6memory8policies11unroll_baseILi256ESt5arrayIPcLm2EE23TrivialOffsetCalculatorILi1EjESF_NS8_15LoadWithoutCastENS8_16StoreWithoutCastELi4ELi1EEEEEvT0_T1_.private_seg_size)
	.set _ZN2at6native29vectorized_elementwise_kernelILi2EZZZNS0_12_GLOBAL__N_130modified_bessel_i1_kernel_cudaERNS_18TensorIteratorBaseEENKUlvE_clEvENKUlvE_clEvEUldE_St5arrayIPcLm2EEEEviT0_T1_.uses_vcc, or(1, .L_ZN2at6native25elementwise_kernel_helperILb0EZZZNS0_12_GLOBAL__N_130modified_bessel_i1_kernel_cudaERNS_18TensorIteratorBaseEENKUlvE_clEvENKUlvE_clEvEUldE_NS0_6memory8policies11unroll_baseILi256ESt5arrayIPcLm2EE23TrivialOffsetCalculatorILi1EjESF_NS8_15LoadWithoutCastENS8_16StoreWithoutCastELi4ELi1EEEEEvT0_T1_.uses_vcc)
	.set _ZN2at6native29vectorized_elementwise_kernelILi2EZZZNS0_12_GLOBAL__N_130modified_bessel_i1_kernel_cudaERNS_18TensorIteratorBaseEENKUlvE_clEvENKUlvE_clEvEUldE_St5arrayIPcLm2EEEEviT0_T1_.uses_flat_scratch, or(0, .L_ZN2at6native25elementwise_kernel_helperILb0EZZZNS0_12_GLOBAL__N_130modified_bessel_i1_kernel_cudaERNS_18TensorIteratorBaseEENKUlvE_clEvENKUlvE_clEvEUldE_NS0_6memory8policies11unroll_baseILi256ESt5arrayIPcLm2EE23TrivialOffsetCalculatorILi1EjESF_NS8_15LoadWithoutCastENS8_16StoreWithoutCastELi4ELi1EEEEEvT0_T1_.uses_flat_scratch)
	.set _ZN2at6native29vectorized_elementwise_kernelILi2EZZZNS0_12_GLOBAL__N_130modified_bessel_i1_kernel_cudaERNS_18TensorIteratorBaseEENKUlvE_clEvENKUlvE_clEvEUldE_St5arrayIPcLm2EEEEviT0_T1_.has_dyn_sized_stack, or(0, .L_ZN2at6native25elementwise_kernel_helperILb0EZZZNS0_12_GLOBAL__N_130modified_bessel_i1_kernel_cudaERNS_18TensorIteratorBaseEENKUlvE_clEvENKUlvE_clEvEUldE_NS0_6memory8policies11unroll_baseILi256ESt5arrayIPcLm2EE23TrivialOffsetCalculatorILi1EjESF_NS8_15LoadWithoutCastENS8_16StoreWithoutCastELi4ELi1EEEEEvT0_T1_.has_dyn_sized_stack)
	.set _ZN2at6native29vectorized_elementwise_kernelILi2EZZZNS0_12_GLOBAL__N_130modified_bessel_i1_kernel_cudaERNS_18TensorIteratorBaseEENKUlvE_clEvENKUlvE_clEvEUldE_St5arrayIPcLm2EEEEviT0_T1_.has_recursion, or(0, .L_ZN2at6native25elementwise_kernel_helperILb0EZZZNS0_12_GLOBAL__N_130modified_bessel_i1_kernel_cudaERNS_18TensorIteratorBaseEENKUlvE_clEvENKUlvE_clEvEUldE_NS0_6memory8policies11unroll_baseILi256ESt5arrayIPcLm2EE23TrivialOffsetCalculatorILi1EjESF_NS8_15LoadWithoutCastENS8_16StoreWithoutCastELi4ELi1EEEEEvT0_T1_.has_recursion)
	.set _ZN2at6native29vectorized_elementwise_kernelILi2EZZZNS0_12_GLOBAL__N_130modified_bessel_i1_kernel_cudaERNS_18TensorIteratorBaseEENKUlvE_clEvENKUlvE_clEvEUldE_St5arrayIPcLm2EEEEviT0_T1_.has_indirect_call, or(0, .L_ZN2at6native25elementwise_kernel_helperILb0EZZZNS0_12_GLOBAL__N_130modified_bessel_i1_kernel_cudaERNS_18TensorIteratorBaseEENKUlvE_clEvENKUlvE_clEvEUldE_NS0_6memory8policies11unroll_baseILi256ESt5arrayIPcLm2EE23TrivialOffsetCalculatorILi1EjESF_NS8_15LoadWithoutCastENS8_16StoreWithoutCastELi4ELi1EEEEEvT0_T1_.has_indirect_call)
	.section	.AMDGPU.csdata,"",@progbits
; Kernel info:
; codeLenInByte = 13084
; TotalNumSgprs: 35
; NumVgprs: 32
; ScratchSize: 0
; MemoryBound: 0
; FloatMode: 240
; IeeeMode: 1
; LDSByteSize: 0 bytes/workgroup (compile time only)
; SGPRBlocks: 0
; VGPRBlocks: 3
; NumSGPRsForWavesPerEU: 35
; NumVGPRsForWavesPerEU: 32
; Occupancy: 16
; WaveLimiterHint : 1
; COMPUTE_PGM_RSRC2:SCRATCH_EN: 0
; COMPUTE_PGM_RSRC2:USER_SGPR: 6
; COMPUTE_PGM_RSRC2:TRAP_HANDLER: 0
; COMPUTE_PGM_RSRC2:TGID_X_EN: 1
; COMPUTE_PGM_RSRC2:TGID_Y_EN: 0
; COMPUTE_PGM_RSRC2:TGID_Z_EN: 0
; COMPUTE_PGM_RSRC2:TIDIG_COMP_CNT: 0
	.section	.text._ZN2at6native27unrolled_elementwise_kernelIZZZNS0_12_GLOBAL__N_130modified_bessel_i1_kernel_cudaERNS_18TensorIteratorBaseEENKUlvE_clEvENKUlvE_clEvEUldE_St5arrayIPcLm2EELi4E23TrivialOffsetCalculatorILi1EjESC_NS0_6memory15LoadWithoutCastENSD_16StoreWithoutCastEEEviT_T0_T2_T3_T4_T5_,"axG",@progbits,_ZN2at6native27unrolled_elementwise_kernelIZZZNS0_12_GLOBAL__N_130modified_bessel_i1_kernel_cudaERNS_18TensorIteratorBaseEENKUlvE_clEvENKUlvE_clEvEUldE_St5arrayIPcLm2EELi4E23TrivialOffsetCalculatorILi1EjESC_NS0_6memory15LoadWithoutCastENSD_16StoreWithoutCastEEEviT_T0_T2_T3_T4_T5_,comdat
	.globl	_ZN2at6native27unrolled_elementwise_kernelIZZZNS0_12_GLOBAL__N_130modified_bessel_i1_kernel_cudaERNS_18TensorIteratorBaseEENKUlvE_clEvENKUlvE_clEvEUldE_St5arrayIPcLm2EELi4E23TrivialOffsetCalculatorILi1EjESC_NS0_6memory15LoadWithoutCastENSD_16StoreWithoutCastEEEviT_T0_T2_T3_T4_T5_ ; -- Begin function _ZN2at6native27unrolled_elementwise_kernelIZZZNS0_12_GLOBAL__N_130modified_bessel_i1_kernel_cudaERNS_18TensorIteratorBaseEENKUlvE_clEvENKUlvE_clEvEUldE_St5arrayIPcLm2EELi4E23TrivialOffsetCalculatorILi1EjESC_NS0_6memory15LoadWithoutCastENSD_16StoreWithoutCastEEEviT_T0_T2_T3_T4_T5_
	.p2align	8
	.type	_ZN2at6native27unrolled_elementwise_kernelIZZZNS0_12_GLOBAL__N_130modified_bessel_i1_kernel_cudaERNS_18TensorIteratorBaseEENKUlvE_clEvENKUlvE_clEvEUldE_St5arrayIPcLm2EELi4E23TrivialOffsetCalculatorILi1EjESC_NS0_6memory15LoadWithoutCastENSD_16StoreWithoutCastEEEviT_T0_T2_T3_T4_T5_,@function
_ZN2at6native27unrolled_elementwise_kernelIZZZNS0_12_GLOBAL__N_130modified_bessel_i1_kernel_cudaERNS_18TensorIteratorBaseEENKUlvE_clEvENKUlvE_clEvEUldE_St5arrayIPcLm2EELi4E23TrivialOffsetCalculatorILi1EjESC_NS0_6memory15LoadWithoutCastENSD_16StoreWithoutCastEEEviT_T0_T2_T3_T4_T5_: ; @_ZN2at6native27unrolled_elementwise_kernelIZZZNS0_12_GLOBAL__N_130modified_bessel_i1_kernel_cudaERNS_18TensorIteratorBaseEENKUlvE_clEvENKUlvE_clEvEUldE_St5arrayIPcLm2EELi4E23TrivialOffsetCalculatorILi1EjESC_NS0_6memory15LoadWithoutCastENSD_16StoreWithoutCastEEEviT_T0_T2_T3_T4_T5_
; %bb.0:
	s_add_u32 s0, s0, s7
	s_clause 0x1
	s_load_dword s7, s[4:5], 0x0
	s_load_dwordx4 s[8:11], s[4:5], 0x8
	s_addc_u32 s1, s1, 0
	s_lshl_b32 s12, s6, 10
	s_getpc_b64 s[4:5]
	s_add_u32 s4, s4, _ZN2at6native25elementwise_kernel_helperILb0EZZZNS0_12_GLOBAL__N_130modified_bessel_i1_kernel_cudaERNS_18TensorIteratorBaseEENKUlvE_clEvENKUlvE_clEvEUldE_NS0_6memory8policies11unroll_baseILi256ESt5arrayIPcLm2EE23TrivialOffsetCalculatorILi1EjESF_NS8_15LoadWithoutCastENS8_16StoreWithoutCastELi4ELi1EEEEEvT0_T1_@rel32@lo+4
	s_addc_u32 s5, s5, _ZN2at6native25elementwise_kernel_helperILb0EZZZNS0_12_GLOBAL__N_130modified_bessel_i1_kernel_cudaERNS_18TensorIteratorBaseEENKUlvE_clEvENKUlvE_clEvEUldE_NS0_6memory8policies11unroll_baseILi256ESt5arrayIPcLm2EE23TrivialOffsetCalculatorILi1EjESF_NS8_15LoadWithoutCastENS8_16StoreWithoutCastELi4ELi1EEEEEvT0_T1_@rel32@hi+12
	v_mov_b32_e32 v31, v0
	s_mov_b32 s32, 0
	s_waitcnt lgkmcnt(0)
	s_sub_i32 s7, s7, s12
	v_mov_b32_e32 v0, s8
	v_mov_b32_e32 v1, s9
	;; [unrolled: 1-line block ×5, first 2 shown]
	s_mov_b32 s12, s6
	s_swappc_b64 s[30:31], s[4:5]
	s_endpgm
	.section	.rodata,"a",@progbits
	.p2align	6, 0x0
	.amdhsa_kernel _ZN2at6native27unrolled_elementwise_kernelIZZZNS0_12_GLOBAL__N_130modified_bessel_i1_kernel_cudaERNS_18TensorIteratorBaseEENKUlvE_clEvENKUlvE_clEvEUldE_St5arrayIPcLm2EELi4E23TrivialOffsetCalculatorILi1EjESC_NS0_6memory15LoadWithoutCastENSD_16StoreWithoutCastEEEviT_T0_T2_T3_T4_T5_
		.amdhsa_group_segment_fixed_size 0
		.amdhsa_private_segment_fixed_size 0
		.amdhsa_kernarg_size 28
		.amdhsa_user_sgpr_count 6
		.amdhsa_user_sgpr_private_segment_buffer 1
		.amdhsa_user_sgpr_dispatch_ptr 0
		.amdhsa_user_sgpr_queue_ptr 0
		.amdhsa_user_sgpr_kernarg_segment_ptr 1
		.amdhsa_user_sgpr_dispatch_id 0
		.amdhsa_user_sgpr_flat_scratch_init 0
		.amdhsa_user_sgpr_private_segment_size 0
		.amdhsa_wavefront_size32 1
		.amdhsa_uses_dynamic_stack 0
		.amdhsa_system_sgpr_private_segment_wavefront_offset 0
		.amdhsa_system_sgpr_workgroup_id_x 1
		.amdhsa_system_sgpr_workgroup_id_y 0
		.amdhsa_system_sgpr_workgroup_id_z 0
		.amdhsa_system_sgpr_workgroup_info 0
		.amdhsa_system_vgpr_workitem_id 0
		.amdhsa_next_free_vgpr 32
		.amdhsa_next_free_sgpr 33
		.amdhsa_reserve_vcc 1
		.amdhsa_reserve_flat_scratch 0
		.amdhsa_float_round_mode_32 0
		.amdhsa_float_round_mode_16_64 0
		.amdhsa_float_denorm_mode_32 3
		.amdhsa_float_denorm_mode_16_64 3
		.amdhsa_dx10_clamp 1
		.amdhsa_ieee_mode 1
		.amdhsa_fp16_overflow 0
		.amdhsa_workgroup_processor_mode 1
		.amdhsa_memory_ordered 1
		.amdhsa_forward_progress 1
		.amdhsa_shared_vgpr_count 0
		.amdhsa_exception_fp_ieee_invalid_op 0
		.amdhsa_exception_fp_denorm_src 0
		.amdhsa_exception_fp_ieee_div_zero 0
		.amdhsa_exception_fp_ieee_overflow 0
		.amdhsa_exception_fp_ieee_underflow 0
		.amdhsa_exception_fp_ieee_inexact 0
		.amdhsa_exception_int_div_zero 0
	.end_amdhsa_kernel
	.section	.text._ZN2at6native27unrolled_elementwise_kernelIZZZNS0_12_GLOBAL__N_130modified_bessel_i1_kernel_cudaERNS_18TensorIteratorBaseEENKUlvE_clEvENKUlvE_clEvEUldE_St5arrayIPcLm2EELi4E23TrivialOffsetCalculatorILi1EjESC_NS0_6memory15LoadWithoutCastENSD_16StoreWithoutCastEEEviT_T0_T2_T3_T4_T5_,"axG",@progbits,_ZN2at6native27unrolled_elementwise_kernelIZZZNS0_12_GLOBAL__N_130modified_bessel_i1_kernel_cudaERNS_18TensorIteratorBaseEENKUlvE_clEvENKUlvE_clEvEUldE_St5arrayIPcLm2EELi4E23TrivialOffsetCalculatorILi1EjESC_NS0_6memory15LoadWithoutCastENSD_16StoreWithoutCastEEEviT_T0_T2_T3_T4_T5_,comdat
.Lfunc_end6:
	.size	_ZN2at6native27unrolled_elementwise_kernelIZZZNS0_12_GLOBAL__N_130modified_bessel_i1_kernel_cudaERNS_18TensorIteratorBaseEENKUlvE_clEvENKUlvE_clEvEUldE_St5arrayIPcLm2EELi4E23TrivialOffsetCalculatorILi1EjESC_NS0_6memory15LoadWithoutCastENSD_16StoreWithoutCastEEEviT_T0_T2_T3_T4_T5_, .Lfunc_end6-_ZN2at6native27unrolled_elementwise_kernelIZZZNS0_12_GLOBAL__N_130modified_bessel_i1_kernel_cudaERNS_18TensorIteratorBaseEENKUlvE_clEvENKUlvE_clEvEUldE_St5arrayIPcLm2EELi4E23TrivialOffsetCalculatorILi1EjESC_NS0_6memory15LoadWithoutCastENSD_16StoreWithoutCastEEEviT_T0_T2_T3_T4_T5_
                                        ; -- End function
	.set _ZN2at6native27unrolled_elementwise_kernelIZZZNS0_12_GLOBAL__N_130modified_bessel_i1_kernel_cudaERNS_18TensorIteratorBaseEENKUlvE_clEvENKUlvE_clEvEUldE_St5arrayIPcLm2EELi4E23TrivialOffsetCalculatorILi1EjESC_NS0_6memory15LoadWithoutCastENSD_16StoreWithoutCastEEEviT_T0_T2_T3_T4_T5_.num_vgpr, max(32, .L_ZN2at6native25elementwise_kernel_helperILb0EZZZNS0_12_GLOBAL__N_130modified_bessel_i1_kernel_cudaERNS_18TensorIteratorBaseEENKUlvE_clEvENKUlvE_clEvEUldE_NS0_6memory8policies11unroll_baseILi256ESt5arrayIPcLm2EE23TrivialOffsetCalculatorILi1EjESF_NS8_15LoadWithoutCastENS8_16StoreWithoutCastELi4ELi1EEEEEvT0_T1_.num_vgpr)
	.set _ZN2at6native27unrolled_elementwise_kernelIZZZNS0_12_GLOBAL__N_130modified_bessel_i1_kernel_cudaERNS_18TensorIteratorBaseEENKUlvE_clEvENKUlvE_clEvEUldE_St5arrayIPcLm2EELi4E23TrivialOffsetCalculatorILi1EjESC_NS0_6memory15LoadWithoutCastENSD_16StoreWithoutCastEEEviT_T0_T2_T3_T4_T5_.num_agpr, max(0, .L_ZN2at6native25elementwise_kernel_helperILb0EZZZNS0_12_GLOBAL__N_130modified_bessel_i1_kernel_cudaERNS_18TensorIteratorBaseEENKUlvE_clEvENKUlvE_clEvEUldE_NS0_6memory8policies11unroll_baseILi256ESt5arrayIPcLm2EE23TrivialOffsetCalculatorILi1EjESF_NS8_15LoadWithoutCastENS8_16StoreWithoutCastELi4ELi1EEEEEvT0_T1_.num_agpr)
	.set _ZN2at6native27unrolled_elementwise_kernelIZZZNS0_12_GLOBAL__N_130modified_bessel_i1_kernel_cudaERNS_18TensorIteratorBaseEENKUlvE_clEvENKUlvE_clEvEUldE_St5arrayIPcLm2EELi4E23TrivialOffsetCalculatorILi1EjESC_NS0_6memory15LoadWithoutCastENSD_16StoreWithoutCastEEEviT_T0_T2_T3_T4_T5_.numbered_sgpr, max(33, .L_ZN2at6native25elementwise_kernel_helperILb0EZZZNS0_12_GLOBAL__N_130modified_bessel_i1_kernel_cudaERNS_18TensorIteratorBaseEENKUlvE_clEvENKUlvE_clEvEUldE_NS0_6memory8policies11unroll_baseILi256ESt5arrayIPcLm2EE23TrivialOffsetCalculatorILi1EjESF_NS8_15LoadWithoutCastENS8_16StoreWithoutCastELi4ELi1EEEEEvT0_T1_.numbered_sgpr)
	.set _ZN2at6native27unrolled_elementwise_kernelIZZZNS0_12_GLOBAL__N_130modified_bessel_i1_kernel_cudaERNS_18TensorIteratorBaseEENKUlvE_clEvENKUlvE_clEvEUldE_St5arrayIPcLm2EELi4E23TrivialOffsetCalculatorILi1EjESC_NS0_6memory15LoadWithoutCastENSD_16StoreWithoutCastEEEviT_T0_T2_T3_T4_T5_.num_named_barrier, max(0, .L_ZN2at6native25elementwise_kernel_helperILb0EZZZNS0_12_GLOBAL__N_130modified_bessel_i1_kernel_cudaERNS_18TensorIteratorBaseEENKUlvE_clEvENKUlvE_clEvEUldE_NS0_6memory8policies11unroll_baseILi256ESt5arrayIPcLm2EE23TrivialOffsetCalculatorILi1EjESF_NS8_15LoadWithoutCastENS8_16StoreWithoutCastELi4ELi1EEEEEvT0_T1_.num_named_barrier)
	.set _ZN2at6native27unrolled_elementwise_kernelIZZZNS0_12_GLOBAL__N_130modified_bessel_i1_kernel_cudaERNS_18TensorIteratorBaseEENKUlvE_clEvENKUlvE_clEvEUldE_St5arrayIPcLm2EELi4E23TrivialOffsetCalculatorILi1EjESC_NS0_6memory15LoadWithoutCastENSD_16StoreWithoutCastEEEviT_T0_T2_T3_T4_T5_.private_seg_size, 0+max(.L_ZN2at6native25elementwise_kernel_helperILb0EZZZNS0_12_GLOBAL__N_130modified_bessel_i1_kernel_cudaERNS_18TensorIteratorBaseEENKUlvE_clEvENKUlvE_clEvEUldE_NS0_6memory8policies11unroll_baseILi256ESt5arrayIPcLm2EE23TrivialOffsetCalculatorILi1EjESF_NS8_15LoadWithoutCastENS8_16StoreWithoutCastELi4ELi1EEEEEvT0_T1_.private_seg_size)
	.set _ZN2at6native27unrolled_elementwise_kernelIZZZNS0_12_GLOBAL__N_130modified_bessel_i1_kernel_cudaERNS_18TensorIteratorBaseEENKUlvE_clEvENKUlvE_clEvEUldE_St5arrayIPcLm2EELi4E23TrivialOffsetCalculatorILi1EjESC_NS0_6memory15LoadWithoutCastENSD_16StoreWithoutCastEEEviT_T0_T2_T3_T4_T5_.uses_vcc, or(1, .L_ZN2at6native25elementwise_kernel_helperILb0EZZZNS0_12_GLOBAL__N_130modified_bessel_i1_kernel_cudaERNS_18TensorIteratorBaseEENKUlvE_clEvENKUlvE_clEvEUldE_NS0_6memory8policies11unroll_baseILi256ESt5arrayIPcLm2EE23TrivialOffsetCalculatorILi1EjESF_NS8_15LoadWithoutCastENS8_16StoreWithoutCastELi4ELi1EEEEEvT0_T1_.uses_vcc)
	.set _ZN2at6native27unrolled_elementwise_kernelIZZZNS0_12_GLOBAL__N_130modified_bessel_i1_kernel_cudaERNS_18TensorIteratorBaseEENKUlvE_clEvENKUlvE_clEvEUldE_St5arrayIPcLm2EELi4E23TrivialOffsetCalculatorILi1EjESC_NS0_6memory15LoadWithoutCastENSD_16StoreWithoutCastEEEviT_T0_T2_T3_T4_T5_.uses_flat_scratch, or(0, .L_ZN2at6native25elementwise_kernel_helperILb0EZZZNS0_12_GLOBAL__N_130modified_bessel_i1_kernel_cudaERNS_18TensorIteratorBaseEENKUlvE_clEvENKUlvE_clEvEUldE_NS0_6memory8policies11unroll_baseILi256ESt5arrayIPcLm2EE23TrivialOffsetCalculatorILi1EjESF_NS8_15LoadWithoutCastENS8_16StoreWithoutCastELi4ELi1EEEEEvT0_T1_.uses_flat_scratch)
	.set _ZN2at6native27unrolled_elementwise_kernelIZZZNS0_12_GLOBAL__N_130modified_bessel_i1_kernel_cudaERNS_18TensorIteratorBaseEENKUlvE_clEvENKUlvE_clEvEUldE_St5arrayIPcLm2EELi4E23TrivialOffsetCalculatorILi1EjESC_NS0_6memory15LoadWithoutCastENSD_16StoreWithoutCastEEEviT_T0_T2_T3_T4_T5_.has_dyn_sized_stack, or(0, .L_ZN2at6native25elementwise_kernel_helperILb0EZZZNS0_12_GLOBAL__N_130modified_bessel_i1_kernel_cudaERNS_18TensorIteratorBaseEENKUlvE_clEvENKUlvE_clEvEUldE_NS0_6memory8policies11unroll_baseILi256ESt5arrayIPcLm2EE23TrivialOffsetCalculatorILi1EjESF_NS8_15LoadWithoutCastENS8_16StoreWithoutCastELi4ELi1EEEEEvT0_T1_.has_dyn_sized_stack)
	.set _ZN2at6native27unrolled_elementwise_kernelIZZZNS0_12_GLOBAL__N_130modified_bessel_i1_kernel_cudaERNS_18TensorIteratorBaseEENKUlvE_clEvENKUlvE_clEvEUldE_St5arrayIPcLm2EELi4E23TrivialOffsetCalculatorILi1EjESC_NS0_6memory15LoadWithoutCastENSD_16StoreWithoutCastEEEviT_T0_T2_T3_T4_T5_.has_recursion, or(0, .L_ZN2at6native25elementwise_kernel_helperILb0EZZZNS0_12_GLOBAL__N_130modified_bessel_i1_kernel_cudaERNS_18TensorIteratorBaseEENKUlvE_clEvENKUlvE_clEvEUldE_NS0_6memory8policies11unroll_baseILi256ESt5arrayIPcLm2EE23TrivialOffsetCalculatorILi1EjESF_NS8_15LoadWithoutCastENS8_16StoreWithoutCastELi4ELi1EEEEEvT0_T1_.has_recursion)
	.set _ZN2at6native27unrolled_elementwise_kernelIZZZNS0_12_GLOBAL__N_130modified_bessel_i1_kernel_cudaERNS_18TensorIteratorBaseEENKUlvE_clEvENKUlvE_clEvEUldE_St5arrayIPcLm2EELi4E23TrivialOffsetCalculatorILi1EjESC_NS0_6memory15LoadWithoutCastENSD_16StoreWithoutCastEEEviT_T0_T2_T3_T4_T5_.has_indirect_call, or(0, .L_ZN2at6native25elementwise_kernel_helperILb0EZZZNS0_12_GLOBAL__N_130modified_bessel_i1_kernel_cudaERNS_18TensorIteratorBaseEENKUlvE_clEvENKUlvE_clEvEUldE_NS0_6memory8policies11unroll_baseILi256ESt5arrayIPcLm2EE23TrivialOffsetCalculatorILi1EjESF_NS8_15LoadWithoutCastENS8_16StoreWithoutCastELi4ELi1EEEEEvT0_T1_.has_indirect_call)
	.section	.AMDGPU.csdata,"",@progbits
; Kernel info:
; codeLenInByte = 100
; TotalNumSgprs: 35
; NumVgprs: 32
; ScratchSize: 0
; MemoryBound: 0
; FloatMode: 240
; IeeeMode: 1
; LDSByteSize: 0 bytes/workgroup (compile time only)
; SGPRBlocks: 0
; VGPRBlocks: 3
; NumSGPRsForWavesPerEU: 35
; NumVGPRsForWavesPerEU: 32
; Occupancy: 16
; WaveLimiterHint : 0
; COMPUTE_PGM_RSRC2:SCRATCH_EN: 0
; COMPUTE_PGM_RSRC2:USER_SGPR: 6
; COMPUTE_PGM_RSRC2:TRAP_HANDLER: 0
; COMPUTE_PGM_RSRC2:TGID_X_EN: 1
; COMPUTE_PGM_RSRC2:TGID_Y_EN: 0
; COMPUTE_PGM_RSRC2:TGID_Z_EN: 0
; COMPUTE_PGM_RSRC2:TIDIG_COMP_CNT: 0
	.section	.text._ZN2at6native32elementwise_kernel_manual_unrollILi128ELi4EZNS0_22gpu_kernel_impl_nocastIZZZNS0_12_GLOBAL__N_130modified_bessel_i1_kernel_cudaERNS_18TensorIteratorBaseEENKUlvE_clEvENKUlvE_clEvEUldE_EEvS5_RKT_EUlibE_EEviT1_,"axG",@progbits,_ZN2at6native32elementwise_kernel_manual_unrollILi128ELi4EZNS0_22gpu_kernel_impl_nocastIZZZNS0_12_GLOBAL__N_130modified_bessel_i1_kernel_cudaERNS_18TensorIteratorBaseEENKUlvE_clEvENKUlvE_clEvEUldE_EEvS5_RKT_EUlibE_EEviT1_,comdat
	.globl	_ZN2at6native32elementwise_kernel_manual_unrollILi128ELi4EZNS0_22gpu_kernel_impl_nocastIZZZNS0_12_GLOBAL__N_130modified_bessel_i1_kernel_cudaERNS_18TensorIteratorBaseEENKUlvE_clEvENKUlvE_clEvEUldE_EEvS5_RKT_EUlibE_EEviT1_ ; -- Begin function _ZN2at6native32elementwise_kernel_manual_unrollILi128ELi4EZNS0_22gpu_kernel_impl_nocastIZZZNS0_12_GLOBAL__N_130modified_bessel_i1_kernel_cudaERNS_18TensorIteratorBaseEENKUlvE_clEvENKUlvE_clEvEUldE_EEvS5_RKT_EUlibE_EEviT1_
	.p2align	8
	.type	_ZN2at6native32elementwise_kernel_manual_unrollILi128ELi4EZNS0_22gpu_kernel_impl_nocastIZZZNS0_12_GLOBAL__N_130modified_bessel_i1_kernel_cudaERNS_18TensorIteratorBaseEENKUlvE_clEvENKUlvE_clEvEUldE_EEvS5_RKT_EUlibE_EEviT1_,@function
_ZN2at6native32elementwise_kernel_manual_unrollILi128ELi4EZNS0_22gpu_kernel_impl_nocastIZZZNS0_12_GLOBAL__N_130modified_bessel_i1_kernel_cudaERNS_18TensorIteratorBaseEENKUlvE_clEvENKUlvE_clEvEUldE_EEvS5_RKT_EUlibE_EEviT1_: ; @_ZN2at6native32elementwise_kernel_manual_unrollILi128ELi4EZNS0_22gpu_kernel_impl_nocastIZZZNS0_12_GLOBAL__N_130modified_bessel_i1_kernel_cudaERNS_18TensorIteratorBaseEENKUlvE_clEvENKUlvE_clEvEUldE_EEvS5_RKT_EUlibE_EEviT1_
; %bb.0:
	s_clause 0x1
	s_load_dword s22, s[4:5], 0x8
	s_load_dword s27, s[4:5], 0x0
	v_lshl_or_b32 v9, s6, 9, v0
	s_add_u32 s2, s4, 8
	s_addc_u32 s3, s5, 0
	s_mov_b32 s0, exec_lo
	v_or_b32_e32 v12, 0x180, v9
	s_waitcnt lgkmcnt(0)
	s_add_i32 s23, s22, -1
	s_cmp_gt_u32 s23, 1
	s_cselect_b32 s24, -1, 0
	v_cmpx_le_i32_e64 s27, v12
	s_xor_b32 s25, exec_lo, s0
	s_cbranch_execz .LBB7_7
; %bb.1:
	s_clause 0x3
	s_load_dwordx4 s[12:15], s[2:3], 0x4
	s_load_dwordx2 s[16:17], s[2:3], 0x14
	s_load_dwordx4 s[8:11], s[2:3], 0xc4
	s_load_dwordx4 s[4:7], s[2:3], 0x148
	s_cmp_lg_u32 s22, 0
	s_mov_b32 s30, exec_lo
	s_cselect_b32 s29, -1, 0
	s_add_u32 s18, s2, 0xc4
	s_addc_u32 s19, s3, 0
	s_min_u32 s28, s23, 15
	s_cmp_gt_u32 s22, 1
	s_cselect_b32 s26, -1, 0
	v_cmpx_gt_i32_e64 s27, v9
	s_cbranch_execz .LBB7_14
; %bb.2:
	s_andn2_b32 vcc_lo, exec_lo, s24
	s_cbranch_vccnz .LBB7_21
; %bb.3:
	s_andn2_b32 vcc_lo, exec_lo, s29
	s_cbranch_vccnz .LBB7_121
; %bb.4:
	s_add_i32 s33, s28, 1
	s_cmp_eq_u32 s23, 2
	s_cbranch_scc1 .LBB7_123
; %bb.5:
	v_mov_b32_e32 v2, 0
	v_mov_b32_e32 v0, 0
	;; [unrolled: 1-line block ×3, first 2 shown]
	s_and_b32 s31, s33, 28
	s_mov_b32 s34, 0
	s_mov_b64 s[0:1], s[2:3]
	s_mov_b64 s[20:21], s[18:19]
.LBB7_6:                                ; =>This Inner Loop Header: Depth=1
	s_clause 0x1
	s_load_dwordx8 s[36:43], s[0:1], 0x4
	s_load_dwordx4 s[52:55], s[0:1], 0x24
	s_load_dwordx8 s[44:51], s[20:21], 0x0
	s_add_u32 s0, s0, 48
	s_addc_u32 s1, s1, 0
	s_add_i32 s34, s34, 4
	s_add_u32 s20, s20, 32
	s_addc_u32 s21, s21, 0
	s_cmp_lg_u32 s31, s34
	s_waitcnt lgkmcnt(0)
	v_mul_hi_u32 v3, s37, v1
	v_add_nc_u32_e32 v3, v1, v3
	v_lshrrev_b32_e32 v3, s38, v3
	v_mul_hi_u32 v4, s40, v3
	v_mul_lo_u32 v6, v3, s36
	v_add_nc_u32_e32 v4, v3, v4
	v_sub_nc_u32_e32 v1, v1, v6
	v_lshrrev_b32_e32 v4, s41, v4
	v_mul_lo_u32 v6, v1, s44
	v_mul_lo_u32 v8, v1, s45
	v_mul_hi_u32 v5, s43, v4
	v_add_nc_u32_e32 v5, v4, v5
	v_lshrrev_b32_e32 v5, s52, v5
	v_mul_hi_u32 v7, s54, v5
	v_mul_lo_u32 v10, v5, s42
	v_add_nc_u32_e32 v1, v5, v7
	v_mul_lo_u32 v7, v4, s39
	v_sub_nc_u32_e32 v4, v4, v10
	v_lshrrev_b32_e32 v1, s55, v1
	v_mul_lo_u32 v10, v4, s48
	v_mul_lo_u32 v4, v4, s49
	v_sub_nc_u32_e32 v3, v3, v7
	v_mul_lo_u32 v11, v1, s53
	v_mul_lo_u32 v7, v3, s46
	;; [unrolled: 1-line block ×3, first 2 shown]
	v_sub_nc_u32_e32 v5, v5, v11
	v_add3_u32 v0, v6, v0, v7
	v_mul_lo_u32 v11, v5, s50
	v_mul_lo_u32 v5, v5, s51
	v_add3_u32 v2, v8, v2, v3
	v_add3_u32 v0, v10, v0, v11
	v_add3_u32 v2, v4, v2, v5
	s_cbranch_scc1 .LBB7_6
	s_branch .LBB7_124
.LBB7_7:
	s_andn2_saveexec_b32 s0, s25
	s_cbranch_execz .LBB7_173
.LBB7_8:
	v_cndmask_b32_e64 v4, 0, 1, s24
	s_andn2_b32 vcc_lo, exec_lo, s24
	s_cbranch_vccnz .LBB7_20
; %bb.9:
	s_cmp_lg_u32 s22, 0
	s_waitcnt lgkmcnt(0)
	s_mov_b32 s6, 0
	s_cbranch_scc0 .LBB7_23
; %bb.10:
	s_min_u32 s8, s23, 15
	s_add_i32 s8, s8, 1
	s_cmp_eq_u32 s23, 2
	s_cbranch_scc1 .LBB7_24
; %bb.11:
	v_mov_b32_e32 v7, 0
	v_mov_b32_e32 v0, 0
	;; [unrolled: 1-line block ×3, first 2 shown]
	s_and_b32 s7, s8, 28
	s_add_u32 s0, s2, 0xc4
	s_addc_u32 s1, s3, 0
	s_mov_b32 s9, 0
	s_mov_b64 s[4:5], s[2:3]
.LBB7_12:                               ; =>This Inner Loop Header: Depth=1
	s_clause 0x1
	s_load_dwordx8 s[12:19], s[4:5], 0x4
	s_load_dwordx4 s[36:39], s[4:5], 0x24
	s_load_dwordx8 s[24:31], s[0:1], 0x0
	s_add_u32 s4, s4, 48
	s_addc_u32 s5, s5, 0
	s_add_i32 s9, s9, 4
	s_add_u32 s0, s0, 32
	s_addc_u32 s1, s1, 0
	s_cmp_lg_u32 s7, s9
	s_waitcnt lgkmcnt(0)
	v_mul_hi_u32 v2, s13, v1
	v_add_nc_u32_e32 v2, v1, v2
	v_lshrrev_b32_e32 v2, s14, v2
	v_mul_hi_u32 v3, s16, v2
	v_mul_lo_u32 v6, v2, s12
	v_add_nc_u32_e32 v3, v2, v3
	v_sub_nc_u32_e32 v1, v1, v6
	v_lshrrev_b32_e32 v3, s17, v3
	v_mul_lo_u32 v6, v1, s24
	v_mul_lo_u32 v10, v1, s25
	v_mul_hi_u32 v5, s19, v3
	v_add_nc_u32_e32 v5, v3, v5
	v_lshrrev_b32_e32 v5, s36, v5
	v_mul_hi_u32 v8, s38, v5
	v_mul_lo_u32 v11, v5, s18
	v_add_nc_u32_e32 v1, v5, v8
	v_mul_lo_u32 v8, v3, s15
	v_sub_nc_u32_e32 v3, v3, v11
	v_lshrrev_b32_e32 v1, s39, v1
	v_mul_lo_u32 v11, v3, s28
	v_mul_lo_u32 v3, v3, s29
	v_sub_nc_u32_e32 v2, v2, v8
	v_mul_lo_u32 v13, v1, s37
	v_mul_lo_u32 v8, v2, s26
	;; [unrolled: 1-line block ×3, first 2 shown]
	v_sub_nc_u32_e32 v5, v5, v13
	v_add3_u32 v0, v6, v0, v8
	v_mul_lo_u32 v13, v5, s30
	v_mul_lo_u32 v5, v5, s31
	v_add3_u32 v2, v10, v7, v2
	v_add3_u32 v0, v11, v0, v13
	;; [unrolled: 1-line block ×3, first 2 shown]
	s_cbranch_scc1 .LBB7_12
; %bb.13:
	s_and_b32 s8, s8, 3
	s_cmp_eq_u32 s8, 0
	s_cbranch_scc0 .LBB7_25
	s_branch .LBB7_27
.LBB7_14:
	s_or_b32 exec_lo, exec_lo, s30
	s_mov_b32 s30, exec_lo
	v_cmpx_gt_i32_e64 s27, v9
	s_cbranch_execz .LBB7_143
.LBB7_15:
	s_andn2_b32 vcc_lo, exec_lo, s24
	s_cbranch_vccnz .LBB7_22
; %bb.16:
	s_andn2_b32 vcc_lo, exec_lo, s29
	s_cbranch_vccnz .LBB7_122
; %bb.17:
	s_add_i32 s33, s28, 1
	s_cmp_eq_u32 s23, 2
	s_cbranch_scc1 .LBB7_151
; %bb.18:
	v_mov_b32_e32 v2, 0
	v_mov_b32_e32 v0, 0
	;; [unrolled: 1-line block ×3, first 2 shown]
	s_and_b32 s31, s33, 28
	s_mov_b32 s34, 0
	s_mov_b64 s[0:1], s[2:3]
	s_mov_b64 s[20:21], s[18:19]
.LBB7_19:                               ; =>This Inner Loop Header: Depth=1
	s_clause 0x1
	s_load_dwordx8 s[36:43], s[0:1], 0x4
	s_load_dwordx4 s[52:55], s[0:1], 0x24
	s_load_dwordx8 s[44:51], s[20:21], 0x0
	s_add_u32 s0, s0, 48
	s_addc_u32 s1, s1, 0
	s_add_i32 s34, s34, 4
	s_add_u32 s20, s20, 32
	s_addc_u32 s21, s21, 0
	s_cmp_eq_u32 s31, s34
	s_waitcnt lgkmcnt(0)
	v_mul_hi_u32 v3, s37, v1
	v_add_nc_u32_e32 v3, v1, v3
	v_lshrrev_b32_e32 v3, s38, v3
	v_mul_hi_u32 v4, s40, v3
	v_mul_lo_u32 v6, v3, s36
	v_add_nc_u32_e32 v4, v3, v4
	v_sub_nc_u32_e32 v1, v1, v6
	v_lshrrev_b32_e32 v4, s41, v4
	v_mul_lo_u32 v6, v1, s44
	v_mul_lo_u32 v8, v1, s45
	v_mul_hi_u32 v5, s43, v4
	v_add_nc_u32_e32 v5, v4, v5
	v_lshrrev_b32_e32 v5, s52, v5
	v_mul_hi_u32 v7, s54, v5
	v_mul_lo_u32 v10, v5, s42
	v_add_nc_u32_e32 v1, v5, v7
	v_mul_lo_u32 v7, v4, s39
	v_sub_nc_u32_e32 v4, v4, v10
	v_lshrrev_b32_e32 v1, s55, v1
	v_mul_lo_u32 v10, v4, s48
	v_mul_lo_u32 v4, v4, s49
	v_sub_nc_u32_e32 v3, v3, v7
	v_mul_lo_u32 v11, v1, s53
	v_mul_lo_u32 v7, v3, s46
	;; [unrolled: 1-line block ×3, first 2 shown]
	v_sub_nc_u32_e32 v5, v5, v11
	v_add3_u32 v0, v6, v0, v7
	v_mul_lo_u32 v11, v5, s50
	v_mul_lo_u32 v5, v5, s51
	v_add3_u32 v2, v8, v2, v3
	v_add3_u32 v0, v10, v0, v11
	;; [unrolled: 1-line block ×3, first 2 shown]
	s_cbranch_scc0 .LBB7_19
	s_branch .LBB7_152
.LBB7_20:
	s_waitcnt lgkmcnt(0)
	s_mov_b32 s6, -1
                                        ; implicit-def: $vgpr0
                                        ; implicit-def: $vgpr7
	s_branch .LBB7_27
.LBB7_21:
                                        ; implicit-def: $vgpr0
                                        ; implicit-def: $vgpr2
	s_branch .LBB7_128
.LBB7_22:
                                        ; implicit-def: $vgpr0
                                        ; implicit-def: $vgpr2
	s_branch .LBB7_156
.LBB7_23:
	v_mov_b32_e32 v0, 0
	v_mov_b32_e32 v7, 0
	s_branch .LBB7_27
.LBB7_24:
	v_mov_b32_e32 v0, 0
	v_mov_b32_e32 v7, 0
	;; [unrolled: 1-line block ×3, first 2 shown]
	s_mov_b32 s7, 0
	s_and_b32 s8, s8, 3
	s_cmp_eq_u32 s8, 0
	s_cbranch_scc1 .LBB7_27
.LBB7_25:
	s_lshl_b32 s0, s7, 3
	s_mul_i32 s4, s7, 12
	s_add_u32 s0, s2, s0
	s_addc_u32 s1, s3, 0
	s_add_u32 s0, s0, 0xc4
	s_addc_u32 s1, s1, 0
	;; [unrolled: 2-line block ×3, first 2 shown]
	.p2align	6
.LBB7_26:                               ; =>This Inner Loop Header: Depth=1
	s_clause 0x1
	s_load_dwordx2 s[10:11], s[4:5], 0x4
	s_load_dword s7, s[4:5], 0xc
	s_load_dwordx2 s[12:13], s[0:1], 0x0
	s_add_u32 s4, s4, 12
	s_addc_u32 s5, s5, 0
	s_add_u32 s0, s0, 8
	s_addc_u32 s1, s1, 0
	s_add_i32 s8, s8, -1
	s_cmp_lg_u32 s8, 0
	s_waitcnt lgkmcnt(0)
	v_mul_hi_u32 v2, s11, v1
	v_add_nc_u32_e32 v2, v1, v2
	v_lshrrev_b32_e32 v2, s7, v2
	v_mul_lo_u32 v3, v2, s10
	v_sub_nc_u32_e32 v3, v1, v3
	v_mad_u64_u32 v[0:1], null, v3, s12, v[0:1]
	v_mad_u64_u32 v[7:8], null, v3, s13, v[7:8]
	v_mov_b32_e32 v1, v2
	s_cbranch_scc1 .LBB7_26
.LBB7_27:
	s_andn2_b32 vcc_lo, exec_lo, s6
	s_cbranch_vccnz .LBB7_30
; %bb.28:
	s_clause 0x1
	s_load_dwordx4 s[4:7], s[2:3], 0x4
	s_load_dwordx2 s[0:1], s[2:3], 0xc4
	s_cmp_lt_u32 s22, 2
	s_waitcnt lgkmcnt(0)
	v_mul_hi_u32 v0, s5, v9
	v_add_nc_u32_e32 v0, v9, v0
	v_lshrrev_b32_e32 v1, s6, v0
	v_mul_lo_u32 v0, v1, s4
	v_sub_nc_u32_e32 v2, v9, v0
	v_mul_lo_u32 v0, v2, s0
	v_mul_lo_u32 v7, v2, s1
	s_cbranch_scc1 .LBB7_30
; %bb.29:
	s_clause 0x1
	s_load_dwordx4 s[4:7], s[2:3], 0x10
	s_load_dwordx2 s[0:1], s[2:3], 0xcc
	s_waitcnt lgkmcnt(0)
	v_mul_hi_u32 v2, s5, v1
	v_add_nc_u32_e32 v2, v1, v2
	v_lshrrev_b32_e32 v2, s6, v2
	v_mul_lo_u32 v2, v2, s4
	v_sub_nc_u32_e32 v2, v1, v2
	v_mad_u64_u32 v[0:1], null, v2, s0, v[0:1]
	v_mad_u64_u32 v[7:8], null, v2, s1, v[7:8]
.LBB7_30:
	v_cmp_ne_u32_e32 vcc_lo, 1, v4
	v_add_nc_u32_e32 v3, 0x80, v9
	s_cbranch_vccnz .LBB7_36
; %bb.31:
	s_cmp_lg_u32 s22, 0
	s_mov_b32 s6, 0
	s_cbranch_scc0 .LBB7_37
; %bb.32:
	s_min_u32 s8, s23, 15
	s_add_i32 s8, s8, 1
	s_cmp_eq_u32 s23, 2
	s_cbranch_scc1 .LBB7_38
; %bb.33:
	v_mov_b32_e32 v10, 0
	v_mov_b32_e32 v1, 0
	;; [unrolled: 1-line block ×3, first 2 shown]
	s_and_b32 s7, s8, 28
	s_add_u32 s0, s2, 0xc4
	s_addc_u32 s1, s3, 0
	s_mov_b32 s9, 0
	s_mov_b64 s[4:5], s[2:3]
.LBB7_34:                               ; =>This Inner Loop Header: Depth=1
	s_clause 0x1
	s_load_dwordx8 s[12:19], s[4:5], 0x4
	s_load_dwordx4 s[36:39], s[4:5], 0x24
	s_load_dwordx8 s[24:31], s[0:1], 0x0
	s_add_u32 s4, s4, 48
	s_addc_u32 s5, s5, 0
	s_add_i32 s9, s9, 4
	s_add_u32 s0, s0, 32
	s_addc_u32 s1, s1, 0
	s_cmp_lg_u32 s7, s9
	s_waitcnt lgkmcnt(0)
	v_mul_hi_u32 v5, s13, v2
	v_add_nc_u32_e32 v5, v2, v5
	v_lshrrev_b32_e32 v5, s14, v5
	v_mul_hi_u32 v6, s16, v5
	v_mul_lo_u32 v11, v5, s12
	v_add_nc_u32_e32 v6, v5, v6
	v_sub_nc_u32_e32 v2, v2, v11
	v_lshrrev_b32_e32 v6, s17, v6
	v_mul_lo_u32 v11, v2, s24
	v_mul_lo_u32 v14, v2, s25
	v_mul_hi_u32 v8, s19, v6
	v_add_nc_u32_e32 v8, v6, v8
	v_lshrrev_b32_e32 v8, s36, v8
	v_mul_hi_u32 v13, s38, v8
	v_mul_lo_u32 v15, v8, s18
	v_add_nc_u32_e32 v2, v8, v13
	v_mul_lo_u32 v13, v6, s15
	v_sub_nc_u32_e32 v6, v6, v15
	v_lshrrev_b32_e32 v2, s39, v2
	v_mul_lo_u32 v15, v6, s28
	v_mul_lo_u32 v6, v6, s29
	v_sub_nc_u32_e32 v5, v5, v13
	v_mul_lo_u32 v16, v2, s37
	v_mul_lo_u32 v13, v5, s26
	;; [unrolled: 1-line block ×3, first 2 shown]
	v_sub_nc_u32_e32 v8, v8, v16
	v_add3_u32 v1, v11, v1, v13
	v_mul_lo_u32 v16, v8, s30
	v_mul_lo_u32 v8, v8, s31
	v_add3_u32 v5, v14, v10, v5
	v_add3_u32 v1, v15, v1, v16
	;; [unrolled: 1-line block ×3, first 2 shown]
	s_cbranch_scc1 .LBB7_34
; %bb.35:
	s_and_b32 s8, s8, 3
	s_cmp_eq_u32 s8, 0
	s_cbranch_scc0 .LBB7_39
	s_branch .LBB7_41
.LBB7_36:
	s_mov_b32 s6, -1
                                        ; implicit-def: $vgpr1
                                        ; implicit-def: $vgpr10
	s_branch .LBB7_41
.LBB7_37:
	v_mov_b32_e32 v1, 0
	v_mov_b32_e32 v10, 0
	s_branch .LBB7_41
.LBB7_38:
	v_mov_b32_e32 v1, 0
	v_mov_b32_e32 v10, 0
	;; [unrolled: 1-line block ×3, first 2 shown]
	s_mov_b32 s7, 0
	s_and_b32 s8, s8, 3
	s_cmp_eq_u32 s8, 0
	s_cbranch_scc1 .LBB7_41
.LBB7_39:
	s_lshl_b32 s0, s7, 3
	s_mul_i32 s4, s7, 12
	s_add_u32 s0, s2, s0
	s_addc_u32 s1, s3, 0
	s_add_u32 s0, s0, 0xc4
	s_addc_u32 s1, s1, 0
	;; [unrolled: 2-line block ×3, first 2 shown]
	.p2align	6
.LBB7_40:                               ; =>This Inner Loop Header: Depth=1
	s_clause 0x1
	s_load_dwordx2 s[10:11], s[4:5], 0x4
	s_load_dword s7, s[4:5], 0xc
	s_load_dwordx2 s[12:13], s[0:1], 0x0
	s_add_u32 s4, s4, 12
	s_addc_u32 s5, s5, 0
	s_add_u32 s0, s0, 8
	s_addc_u32 s1, s1, 0
	s_add_i32 s8, s8, -1
	s_cmp_lg_u32 s8, 0
	s_waitcnt lgkmcnt(0)
	v_mul_hi_u32 v5, s11, v2
	v_add_nc_u32_e32 v5, v2, v5
	v_lshrrev_b32_e32 v5, s7, v5
	v_mul_lo_u32 v6, v5, s10
	v_sub_nc_u32_e32 v6, v2, v6
	v_mad_u64_u32 v[1:2], null, v6, s12, v[1:2]
	v_mad_u64_u32 v[10:11], null, v6, s13, v[10:11]
	v_mov_b32_e32 v2, v5
	s_cbranch_scc1 .LBB7_40
.LBB7_41:
	s_andn2_b32 vcc_lo, exec_lo, s6
	s_cbranch_vccnz .LBB7_44
; %bb.42:
	s_clause 0x1
	s_load_dwordx4 s[4:7], s[2:3], 0x4
	s_load_dwordx2 s[0:1], s[2:3], 0xc4
	s_cmp_lt_u32 s22, 2
	s_waitcnt lgkmcnt(0)
	v_mul_hi_u32 v1, s5, v3
	v_add_nc_u32_e32 v1, v3, v1
	v_lshrrev_b32_e32 v2, s6, v1
	v_mul_lo_u32 v1, v2, s4
	v_sub_nc_u32_e32 v3, v3, v1
	v_mul_lo_u32 v1, v3, s0
	v_mul_lo_u32 v10, v3, s1
	s_cbranch_scc1 .LBB7_44
; %bb.43:
	s_clause 0x1
	s_load_dwordx4 s[4:7], s[2:3], 0x10
	s_load_dwordx2 s[0:1], s[2:3], 0xcc
	s_waitcnt lgkmcnt(0)
	v_mul_hi_u32 v3, s5, v2
	v_add_nc_u32_e32 v3, v2, v3
	v_lshrrev_b32_e32 v3, s6, v3
	v_mul_lo_u32 v3, v3, s4
	v_sub_nc_u32_e32 v3, v2, v3
	v_mad_u64_u32 v[1:2], null, v3, s0, v[1:2]
	v_mad_u64_u32 v[10:11], null, v3, s1, v[10:11]
.LBB7_44:
	v_cmp_ne_u32_e32 vcc_lo, 1, v4
	v_add_nc_u32_e32 v5, 0x100, v9
	s_cbranch_vccnz .LBB7_50
; %bb.45:
	s_cmp_lg_u32 s22, 0
	s_mov_b32 s6, 0
	s_cbranch_scc0 .LBB7_51
; %bb.46:
	s_min_u32 s8, s23, 15
	s_add_i32 s8, s8, 1
	s_cmp_eq_u32 s23, 2
	s_cbranch_scc1 .LBB7_52
; %bb.47:
	v_mov_b32_e32 v8, 0
	v_mov_b32_e32 v2, 0
	;; [unrolled: 1-line block ×3, first 2 shown]
	s_and_b32 s7, s8, 28
	s_add_u32 s0, s2, 0xc4
	s_addc_u32 s1, s3, 0
	s_mov_b32 s9, 0
	s_mov_b64 s[4:5], s[2:3]
.LBB7_48:                               ; =>This Inner Loop Header: Depth=1
	s_clause 0x1
	s_load_dwordx8 s[12:19], s[4:5], 0x4
	s_load_dwordx4 s[36:39], s[4:5], 0x24
	s_load_dwordx8 s[24:31], s[0:1], 0x0
	s_add_u32 s4, s4, 48
	s_addc_u32 s5, s5, 0
	s_add_i32 s9, s9, 4
	s_add_u32 s0, s0, 32
	s_addc_u32 s1, s1, 0
	s_cmp_lg_u32 s7, s9
	s_waitcnt lgkmcnt(0)
	v_mul_hi_u32 v6, s13, v3
	v_add_nc_u32_e32 v6, v3, v6
	v_lshrrev_b32_e32 v6, s14, v6
	v_mul_hi_u32 v9, s16, v6
	v_mul_lo_u32 v13, v6, s12
	v_add_nc_u32_e32 v9, v6, v9
	v_sub_nc_u32_e32 v3, v3, v13
	v_lshrrev_b32_e32 v9, s17, v9
	v_mul_lo_u32 v13, v3, s24
	v_mul_lo_u32 v15, v3, s25
	v_mul_hi_u32 v11, s19, v9
	v_add_nc_u32_e32 v11, v9, v11
	v_lshrrev_b32_e32 v11, s36, v11
	v_mul_hi_u32 v14, s38, v11
	v_mul_lo_u32 v16, v11, s18
	v_add_nc_u32_e32 v3, v11, v14
	v_mul_lo_u32 v14, v9, s15
	v_sub_nc_u32_e32 v9, v9, v16
	v_lshrrev_b32_e32 v3, s39, v3
	v_mul_lo_u32 v16, v9, s28
	v_mul_lo_u32 v9, v9, s29
	v_sub_nc_u32_e32 v6, v6, v14
	v_mul_lo_u32 v17, v3, s37
	v_mul_lo_u32 v14, v6, s26
	;; [unrolled: 1-line block ×3, first 2 shown]
	v_sub_nc_u32_e32 v11, v11, v17
	v_add3_u32 v2, v13, v2, v14
	v_mul_lo_u32 v17, v11, s30
	v_mul_lo_u32 v11, v11, s31
	v_add3_u32 v6, v15, v8, v6
	v_add3_u32 v2, v16, v2, v17
	;; [unrolled: 1-line block ×3, first 2 shown]
	s_cbranch_scc1 .LBB7_48
; %bb.49:
	s_and_b32 s8, s8, 3
	s_cmp_eq_u32 s8, 0
	s_cbranch_scc0 .LBB7_53
	s_branch .LBB7_55
.LBB7_50:
	s_mov_b32 s6, -1
                                        ; implicit-def: $vgpr2
                                        ; implicit-def: $vgpr8
	s_branch .LBB7_55
.LBB7_51:
	v_mov_b32_e32 v2, 0
	v_mov_b32_e32 v8, 0
	s_branch .LBB7_55
.LBB7_52:
	v_mov_b32_e32 v2, 0
	v_mov_b32_e32 v8, 0
	;; [unrolled: 1-line block ×3, first 2 shown]
	s_mov_b32 s7, 0
	s_and_b32 s8, s8, 3
	s_cmp_eq_u32 s8, 0
	s_cbranch_scc1 .LBB7_55
.LBB7_53:
	s_lshl_b32 s0, s7, 3
	s_mul_i32 s4, s7, 12
	s_add_u32 s0, s2, s0
	s_addc_u32 s1, s3, 0
	s_add_u32 s0, s0, 0xc4
	s_addc_u32 s1, s1, 0
	;; [unrolled: 2-line block ×3, first 2 shown]
	.p2align	6
.LBB7_54:                               ; =>This Inner Loop Header: Depth=1
	s_clause 0x1
	s_load_dwordx2 s[10:11], s[4:5], 0x4
	s_load_dword s7, s[4:5], 0xc
	s_load_dwordx2 s[12:13], s[0:1], 0x0
	s_add_u32 s4, s4, 12
	s_addc_u32 s5, s5, 0
	s_add_u32 s0, s0, 8
	s_addc_u32 s1, s1, 0
	s_add_i32 s8, s8, -1
	s_cmp_lg_u32 s8, 0
	s_waitcnt lgkmcnt(0)
	v_mul_hi_u32 v6, s11, v3
	v_add_nc_u32_e32 v6, v3, v6
	v_lshrrev_b32_e32 v6, s7, v6
	v_mul_lo_u32 v9, v6, s10
	v_sub_nc_u32_e32 v9, v3, v9
	v_mad_u64_u32 v[2:3], null, v9, s12, v[2:3]
	v_mad_u64_u32 v[8:9], null, v9, s13, v[8:9]
	v_mov_b32_e32 v3, v6
	s_cbranch_scc1 .LBB7_54
.LBB7_55:
	s_andn2_b32 vcc_lo, exec_lo, s6
	s_cbranch_vccnz .LBB7_58
; %bb.56:
	s_clause 0x1
	s_load_dwordx4 s[4:7], s[2:3], 0x4
	s_load_dwordx2 s[0:1], s[2:3], 0xc4
	s_cmp_lt_u32 s22, 2
	s_waitcnt lgkmcnt(0)
	v_mul_hi_u32 v2, s5, v5
	v_add_nc_u32_e32 v2, v5, v2
	v_lshrrev_b32_e32 v3, s6, v2
	v_mul_lo_u32 v2, v3, s4
	v_sub_nc_u32_e32 v5, v5, v2
	v_mul_lo_u32 v2, v5, s0
	v_mul_lo_u32 v8, v5, s1
	s_cbranch_scc1 .LBB7_58
; %bb.57:
	s_clause 0x1
	s_load_dwordx4 s[4:7], s[2:3], 0x10
	s_load_dwordx2 s[0:1], s[2:3], 0xcc
	s_waitcnt lgkmcnt(0)
	v_mul_hi_u32 v5, s5, v3
	v_add_nc_u32_e32 v5, v3, v5
	v_lshrrev_b32_e32 v5, s6, v5
	v_mul_lo_u32 v5, v5, s4
	v_sub_nc_u32_e32 v5, v3, v5
	v_mad_u64_u32 v[2:3], null, v5, s0, v[2:3]
	v_mad_u64_u32 v[8:9], null, v5, s1, v[8:9]
.LBB7_58:
	v_cmp_ne_u32_e32 vcc_lo, 1, v4
	s_cbranch_vccnz .LBB7_64
; %bb.59:
	s_cmp_lg_u32 s22, 0
	s_mov_b32 s6, 0
	s_cbranch_scc0 .LBB7_65
; %bb.60:
	s_min_u32 s8, s23, 15
	s_add_i32 s8, s8, 1
	s_cmp_eq_u32 s23, 2
	s_cbranch_scc1 .LBB7_66
; %bb.61:
	v_mov_b32_e32 v5, 0
	v_mov_b32_e32 v3, 0
	;; [unrolled: 1-line block ×3, first 2 shown]
	s_and_b32 s7, s8, 28
	s_add_u32 s0, s2, 0xc4
	s_addc_u32 s1, s3, 0
	s_mov_b32 s9, 0
	s_mov_b64 s[4:5], s[2:3]
.LBB7_62:                               ; =>This Inner Loop Header: Depth=1
	s_clause 0x1
	s_load_dwordx8 s[12:19], s[4:5], 0x4
	s_load_dwordx4 s[36:39], s[4:5], 0x24
	s_load_dwordx8 s[24:31], s[0:1], 0x0
	s_add_u32 s4, s4, 48
	s_addc_u32 s5, s5, 0
	s_add_i32 s9, s9, 4
	s_add_u32 s0, s0, 32
	s_addc_u32 s1, s1, 0
	s_cmp_lg_u32 s7, s9
	s_waitcnt lgkmcnt(0)
	v_mul_hi_u32 v6, s13, v4
	v_add_nc_u32_e32 v6, v4, v6
	v_lshrrev_b32_e32 v6, s14, v6
	v_mul_hi_u32 v9, s16, v6
	v_mul_lo_u32 v13, v6, s12
	v_add_nc_u32_e32 v9, v6, v9
	v_sub_nc_u32_e32 v4, v4, v13
	v_lshrrev_b32_e32 v9, s17, v9
	v_mul_lo_u32 v13, v4, s24
	v_mul_lo_u32 v15, v4, s25
	v_mul_hi_u32 v11, s19, v9
	v_add_nc_u32_e32 v11, v9, v11
	v_lshrrev_b32_e32 v11, s36, v11
	v_mul_hi_u32 v14, s38, v11
	v_mul_lo_u32 v16, v11, s18
	v_add_nc_u32_e32 v4, v11, v14
	v_mul_lo_u32 v14, v9, s15
	v_sub_nc_u32_e32 v9, v9, v16
	v_lshrrev_b32_e32 v4, s39, v4
	v_mul_lo_u32 v16, v9, s28
	v_mul_lo_u32 v9, v9, s29
	v_sub_nc_u32_e32 v6, v6, v14
	v_mul_lo_u32 v17, v4, s37
	v_mul_lo_u32 v14, v6, s26
	v_mul_lo_u32 v6, v6, s27
	v_sub_nc_u32_e32 v11, v11, v17
	v_add3_u32 v3, v13, v3, v14
	v_mul_lo_u32 v17, v11, s30
	v_mul_lo_u32 v11, v11, s31
	v_add3_u32 v5, v15, v5, v6
	v_add3_u32 v3, v16, v3, v17
	;; [unrolled: 1-line block ×3, first 2 shown]
	s_cbranch_scc1 .LBB7_62
; %bb.63:
	s_and_b32 s8, s8, 3
	s_cmp_eq_u32 s8, 0
	s_cbranch_scc0 .LBB7_67
	s_branch .LBB7_69
.LBB7_64:
	s_mov_b32 s6, -1
                                        ; implicit-def: $vgpr3
                                        ; implicit-def: $vgpr5
	s_branch .LBB7_69
.LBB7_65:
	v_mov_b32_e32 v3, 0
	v_mov_b32_e32 v5, 0
	s_branch .LBB7_69
.LBB7_66:
	v_mov_b32_e32 v3, 0
	v_mov_b32_e32 v5, 0
	;; [unrolled: 1-line block ×3, first 2 shown]
	s_mov_b32 s7, 0
	s_and_b32 s8, s8, 3
	s_cmp_eq_u32 s8, 0
	s_cbranch_scc1 .LBB7_69
.LBB7_67:
	s_lshl_b32 s0, s7, 3
	s_mul_i32 s4, s7, 12
	s_add_u32 s0, s2, s0
	s_addc_u32 s1, s3, 0
	s_add_u32 s0, s0, 0xc4
	s_addc_u32 s1, s1, 0
	;; [unrolled: 2-line block ×3, first 2 shown]
	.p2align	6
.LBB7_68:                               ; =>This Inner Loop Header: Depth=1
	s_clause 0x1
	s_load_dwordx2 s[10:11], s[4:5], 0x4
	s_load_dword s7, s[4:5], 0xc
	s_load_dwordx2 s[12:13], s[0:1], 0x0
	s_add_u32 s4, s4, 12
	s_addc_u32 s5, s5, 0
	s_add_u32 s0, s0, 8
	s_addc_u32 s1, s1, 0
	s_add_i32 s8, s8, -1
	s_cmp_lg_u32 s8, 0
	s_waitcnt lgkmcnt(0)
	v_mul_hi_u32 v6, s11, v4
	v_add_nc_u32_e32 v6, v4, v6
	v_lshrrev_b32_e32 v9, s7, v6
	v_mul_lo_u32 v6, v9, s10
	v_sub_nc_u32_e32 v6, v4, v6
	v_mad_u64_u32 v[3:4], null, v6, s12, v[3:4]
	v_mad_u64_u32 v[5:6], null, v6, s13, v[5:6]
	v_mov_b32_e32 v4, v9
	s_cbranch_scc1 .LBB7_68
.LBB7_69:
	s_andn2_b32 vcc_lo, exec_lo, s6
	s_cbranch_vccnz .LBB7_72
; %bb.70:
	s_clause 0x1
	s_load_dwordx4 s[4:7], s[2:3], 0x4
	s_load_dwordx2 s[0:1], s[2:3], 0xc4
	s_cmp_lt_u32 s22, 2
	s_waitcnt lgkmcnt(0)
	v_mul_hi_u32 v3, s5, v12
	v_add_nc_u32_e32 v3, v12, v3
	v_lshrrev_b32_e32 v4, s6, v3
	v_mul_lo_u32 v3, v4, s4
	v_sub_nc_u32_e32 v5, v12, v3
	v_mul_lo_u32 v3, v5, s0
	v_mul_lo_u32 v5, v5, s1
	s_cbranch_scc1 .LBB7_72
; %bb.71:
	s_clause 0x1
	s_load_dwordx4 s[4:7], s[2:3], 0x10
	s_load_dwordx2 s[0:1], s[2:3], 0xcc
	s_waitcnt lgkmcnt(0)
	v_mul_hi_u32 v6, s5, v4
	v_add_nc_u32_e32 v6, v4, v6
	v_lshrrev_b32_e32 v6, s6, v6
	v_mul_lo_u32 v6, v6, s4
	v_sub_nc_u32_e32 v6, v4, v6
	v_mad_u64_u32 v[3:4], null, v6, s0, v[3:4]
	v_mad_u64_u32 v[5:6], null, v6, s1, v[5:6]
.LBB7_72:
	s_load_dwordx4 s[4:7], s[2:3], 0x148
	s_waitcnt lgkmcnt(0)
	global_load_dwordx2 v[11:12], v7, s[6:7]
                                        ; implicit-def: $vgpr6_vgpr7
	s_waitcnt vmcnt(0)
	v_cmp_ge_f64_e64 s0, 0x40200000, |v[11:12]|
	s_and_saveexec_b32 s1, s0
	s_xor_b32 s0, exec_lo, s1
	s_cbranch_execz .LBB7_78
; %bb.73:
	v_fma_f64 v[6:7], |v[11:12]|, 0.5, -2.0
	s_mov_b32 s2, 0xc38a0576
	s_mov_b32 s3, 0xbc7857d0
	;; [unrolled: 1-line block ×4, first 2 shown]
	s_mov_b32 s1, exec_lo
	v_fma_f64 v[13:14], v[6:7], s[8:9], s[2:3]
	s_mov_b32 s9, 0xbc499f2a
	s_mov_b32 s2, 0xe593bfac
	;; [unrolled: 1-line block ×3, first 2 shown]
	v_fma_f64 v[15:16], v[6:7], v[13:14], s[8:9]
	s_mov_b32 s8, 0x3b39803f
	s_mov_b32 s9, 0xbc7abc9e
	v_add_f64 v[15:16], v[15:16], s[2:3]
	s_mov_b32 s2, 0x7e0d1573
	s_mov_b32 s3, 0xbcd3eaaa
	v_fma_f64 v[13:14], v[6:7], v[15:16], -v[13:14]
	v_add_f64 v[13:14], v[13:14], s[2:3]
	s_mov_b32 s2, 0x615290c
	s_mov_b32 s3, 0x3d011d7f
	v_fma_f64 v[15:16], v[6:7], v[13:14], -v[15:16]
	;; [unrolled: 4-line block ×20, first 2 shown]
	v_add_f64 v[15:16], v[15:16], s[2:3]
	s_mov_b32 s2, 0x652b82fe
	s_mov_b32 s3, 0x3ff71547
	v_mul_f64 v[17:18], |v[11:12]|, s[2:3]
	s_mov_b32 s2, 0x7913a26a
	s_mov_b32 s3, 0xbf85a29f
	v_fma_f64 v[13:14], v[6:7], v[15:16], -v[13:14]
	v_rndne_f64_e32 v[17:18], v[17:18]
	v_add_f64 v[13:14], v[13:14], s[2:3]
	s_mov_b32 s2, 0xfefa39ef
	s_mov_b32 s3, 0xbfe62e42
	v_fma_f64 v[19:20], v[17:18], s[2:3], |v[11:12]|
	s_mov_b32 s2, 0xe7bb2349
	s_mov_b32 s3, 0x3f9951e3
	v_cvt_i32_f64_e32 v4, v[17:18]
	v_fma_f64 v[15:16], v[6:7], v[13:14], -v[15:16]
	v_fma_f64 v[19:20], v[17:18], s[8:9], v[19:20]
	s_mov_b32 s8, 0x6a5dcb37
	s_mov_b32 s9, 0x3e5ade15
	v_add_f64 v[15:16], v[15:16], s[2:3]
	s_mov_b32 s2, 0xfca7ab0c
	s_mov_b32 s3, 0x3e928af3
	v_fma_f64 v[21:22], v[19:20], s[8:9], s[2:3]
	s_mov_b32 s2, 0x537c9ebc
	s_mov_b32 s8, 0x623fde64
	;; [unrolled: 1-line block ×4, first 2 shown]
	v_fma_f64 v[13:14], v[6:7], v[15:16], -v[13:14]
	v_fma_f64 v[21:22], v[19:20], v[21:22], s[8:9]
	s_mov_b32 s8, 0x14761f6e
	s_mov_b32 s9, 0x3f2a01a0
	v_add_f64 v[13:14], v[13:14], s[2:3]
	s_mov_b32 s2, 0x7c89e6b0
	s_mov_b32 s3, 0x3efa0199
	v_fma_f64 v[21:22], v[19:20], v[21:22], s[2:3]
	s_mov_b32 s2, 0xd536f53c
	s_mov_b32 s3, 0x3fba46da
	v_fma_f64 v[15:16], v[6:7], v[13:14], -v[15:16]
	v_fma_f64 v[21:22], v[19:20], v[21:22], s[8:9]
	s_mov_b32 s8, 0x11122322
	s_mov_b32 s9, 0x3f811111
	v_add_f64 v[15:16], v[15:16], s[2:3]
	s_mov_b32 s2, 0x1852b7b0
	s_mov_b32 s3, 0x3f56c16c
	v_fma_f64 v[21:22], v[19:20], v[21:22], s[2:3]
	s_mov_b32 s2, 0x469192e
	s_mov_b32 s3, 0xbfc694d1
	;; [unrolled: 10-line block ×3, first 2 shown]
	v_fma_f64 v[6:7], v[6:7], v[13:14], -v[15:16]
	v_fma_f64 v[13:14], v[19:20], v[21:22], s[8:9]
	v_add_f64 v[6:7], v[6:7], s[2:3]
	s_mov_b32 s2, 11
	s_mov_b32 s3, 0x3fe00000
	v_fma_f64 v[13:14], v[19:20], v[13:14], s[2:3]
	v_add_f64 v[6:7], v[6:7], -v[15:16]
	v_fma_f64 v[13:14], v[19:20], v[13:14], 1.0
	v_mul_f64 v[6:7], v[6:7], 0.5
	v_fma_f64 v[15:16], v[19:20], v[13:14], 1.0
	v_mul_f64 v[13:14], |v[11:12]|, v[6:7]
                                        ; implicit-def: $vgpr6_vgpr7
	v_cmpx_ngt_f64_e32 0, v[11:12]
	s_xor_b32 s1, exec_lo, s1
	s_cbranch_execz .LBB7_75
; %bb.74:
	v_ldexp_f64 v[6:7], v[15:16], v4
	v_cmp_nlt_f64_e64 vcc_lo, 0x40900000, |v[11:12]|
                                        ; implicit-def: $vgpr15_vgpr16
                                        ; implicit-def: $vgpr4
                                        ; implicit-def: $vgpr11_vgpr12
	v_cndmask_b32_e32 v7, 0x7ff00000, v7, vcc_lo
	v_cndmask_b32_e32 v6, 0, v6, vcc_lo
	v_mul_f64 v[6:7], v[6:7], v[13:14]
                                        ; implicit-def: $vgpr13_vgpr14
.LBB7_75:
	s_andn2_saveexec_b32 s1, s1
	s_cbranch_execz .LBB7_77
; %bb.76:
	v_ldexp_f64 v[6:7], -v[15:16], v4
	v_cmp_nlt_f64_e64 vcc_lo, 0x40900000, |v[11:12]|
	v_cndmask_b32_e32 v7, 0xfff00000, v7, vcc_lo
	v_cndmask_b32_e32 v6, 0, v6, vcc_lo
	v_mul_f64 v[6:7], v[6:7], v[13:14]
.LBB7_77:
	s_or_b32 exec_lo, exec_lo, s1
                                        ; implicit-def: $vgpr11_vgpr12
.LBB7_78:
	s_andn2_saveexec_b32 s1, s0
	s_cbranch_execz .LBB7_84
; %bb.79:
	v_and_b32_e32 v7, 0x7fffffff, v12
	v_mov_b32_e32 v6, v11
	s_mov_b32 s2, 0xea87b950
	s_mov_b32 s3, 0x3c545b8a
	;; [unrolled: 1-line block ×4, first 2 shown]
	v_div_scale_f64 v[13:14], null, v[6:7], v[6:7], 0x40400000
	v_div_scale_f64 v[6:7], vcc_lo, 0x40400000, v[6:7], 0x40400000
	v_cmp_ngt_f64_e64 s0, 0, v[11:12]
	v_rcp_f64_e32 v[15:16], v[13:14]
	v_fma_f64 v[17:18], -v[13:14], v[15:16], 1.0
	v_fma_f64 v[15:16], v[15:16], v[17:18], v[15:16]
	v_fma_f64 v[17:18], -v[13:14], v[15:16], 1.0
	v_fma_f64 v[15:16], v[15:16], v[17:18], v[15:16]
	v_mul_f64 v[17:18], v[6:7], v[15:16]
	v_fma_f64 v[6:7], -v[13:14], v[17:18], v[6:7]
	v_div_fmas_f64 v[6:7], v[6:7], v[15:16], v[17:18]
	v_cmp_nlt_f64_e64 vcc_lo, 0x40900000, |v[11:12]|
	v_div_fixup_f64 v[6:7], v[6:7], |v[11:12]|, 0x40400000
	v_add_f64 v[6:7], v[6:7], -2.0
	v_fma_f64 v[13:14], v[6:7], s[8:9], s[2:3]
	s_mov_b32 s9, 0xbc61556d
	s_mov_b32 s2, 0xb2532277
	;; [unrolled: 1-line block ×3, first 2 shown]
	v_fma_f64 v[15:16], v[6:7], v[13:14], s[8:9]
	s_mov_b32 s8, 0x6a5dcb37
	s_mov_b32 s9, 0x3e5ade15
	v_add_f64 v[15:16], v[15:16], s[2:3]
	s_mov_b32 s2, 0x9c773320
	s_mov_b32 s3, 0xbc82806c
	v_fma_f64 v[13:14], v[6:7], v[15:16], -v[13:14]
	v_add_f64 v[13:14], v[13:14], s[2:3]
	s_mov_b32 s2, 0xfceb588a
	s_mov_b32 s3, 0x3cb55915
	v_fma_f64 v[15:16], v[6:7], v[13:14], -v[15:16]
	;; [unrolled: 4-line block ×14, first 2 shown]
	v_add_f64 v[15:16], v[15:16], s[2:3]
	s_mov_b32 s2, 0x652b82fe
	s_mov_b32 s3, 0x3ff71547
	v_mul_f64 v[17:18], |v[11:12]|, s[2:3]
	s_mov_b32 s2, 0x5423dd80
	s_mov_b32 s3, 0xbe0334ca
	v_fma_f64 v[13:14], v[6:7], v[15:16], -v[13:14]
	v_rndne_f64_e32 v[17:18], v[17:18]
	v_add_f64 v[13:14], v[13:14], s[2:3]
	s_mov_b32 s2, 0xfefa39ef
	s_mov_b32 s3, 0xbfe62e42
	v_fma_f64 v[19:20], v[17:18], s[2:3], |v[11:12]|
	s_mov_b32 s2, 0x9ad53528
	s_mov_b32 s3, 0xbe30790b
	v_cvt_i32_f64_e32 v4, v[17:18]
	v_fma_f64 v[15:16], v[6:7], v[13:14], -v[15:16]
	v_add_f64 v[15:16], v[15:16], s[2:3]
	s_mov_b32 s2, 0x3b39803f
	s_mov_b32 s3, 0xbc7abc9e
	v_fma_f64 v[19:20], v[17:18], s[2:3], v[19:20]
	s_mov_b32 s2, 0xfca7ab0c
	s_mov_b32 s3, 0x3e928af3
	v_fma_f64 v[13:14], v[6:7], v[15:16], -v[13:14]
	v_fma_f64 v[21:22], v[19:20], s[8:9], s[2:3]
	s_mov_b32 s2, 0x94bb46c1
	s_mov_b32 s3, 0xbe5c4153
	v_add_f64 v[13:14], v[13:14], s[2:3]
	s_mov_b32 s2, 0x623fde64
	s_mov_b32 s3, 0x3ec71dee
	v_fma_f64 v[21:22], v[19:20], v[21:22], s[2:3]
	s_mov_b32 s2, 0x7c89e6b0
	s_mov_b32 s3, 0x3efa0199
	v_fma_f64 v[15:16], v[6:7], v[13:14], -v[15:16]
	v_fma_f64 v[21:22], v[19:20], v[21:22], s[2:3]
	s_mov_b32 s2, 0x2e9e5443
	s_mov_b32 s3, 0xbe90dbfd
	;; [unrolled: 10-line block ×5, first 2 shown]
	v_add_f64 v[13:14], v[13:14], s[2:3]
	s_mov_b32 s2, 0xb55b1514
	s_mov_b32 s3, 0x3fe8ea18
	v_fma_f64 v[21:22], v[19:20], v[21:22], 1.0
	v_fma_f64 v[6:7], v[6:7], v[13:14], -v[15:16]
	v_fma_f64 v[13:14], v[19:20], v[21:22], 1.0
	v_add_f64 v[6:7], v[6:7], s[2:3]
	v_ldexp_f64 v[13:14], v[13:14], v4
	v_add_f64 v[15:16], v[6:7], -v[15:16]
                                        ; implicit-def: $vgpr6_vgpr7
	v_cndmask_b32_e32 v14, 0x7ff00000, v14, vcc_lo
	v_cndmask_b32_e32 v13, 0, v13, vcc_lo
	s_and_saveexec_b32 s2, s0
	s_xor_b32 s0, exec_lo, s2
	s_cbranch_execz .LBB7_81
; %bb.80:
	v_cmp_gt_f64_e64 s2, 0x10000000, |v[11:12]|
	v_mul_f64 v[15:16], v[15:16], 0.5
	v_cndmask_b32_e64 v4, 0, 0x100, s2
	v_mul_f64 v[13:14], v[13:14], v[15:16]
	v_ldexp_f64 v[6:7], |v[11:12]|, v4
	v_cndmask_b32_e64 v4, 0, 0xffffff80, s2
	v_rsq_f64_e32 v[11:12], v[6:7]
	v_cmp_class_f64_e64 vcc_lo, v[6:7], 0x260
	v_mul_f64 v[17:18], v[6:7], v[11:12]
	v_mul_f64 v[11:12], v[11:12], 0.5
	v_fma_f64 v[19:20], -v[11:12], v[17:18], 0.5
	v_fma_f64 v[17:18], v[17:18], v[19:20], v[17:18]
	v_fma_f64 v[11:12], v[11:12], v[19:20], v[11:12]
	v_fma_f64 v[19:20], -v[17:18], v[17:18], v[6:7]
	v_fma_f64 v[17:18], v[19:20], v[11:12], v[17:18]
	v_fma_f64 v[19:20], -v[17:18], v[17:18], v[6:7]
	v_fma_f64 v[11:12], v[19:20], v[11:12], v[17:18]
	v_ldexp_f64 v[11:12], v[11:12], v4
	v_cndmask_b32_e32 v7, v12, v7, vcc_lo
	v_cndmask_b32_e32 v6, v11, v6, vcc_lo
	v_div_scale_f64 v[11:12], null, v[6:7], v[6:7], v[13:14]
	v_rcp_f64_e32 v[15:16], v[11:12]
	v_fma_f64 v[17:18], -v[11:12], v[15:16], 1.0
	v_fma_f64 v[15:16], v[15:16], v[17:18], v[15:16]
	v_fma_f64 v[17:18], -v[11:12], v[15:16], 1.0
	v_fma_f64 v[15:16], v[15:16], v[17:18], v[15:16]
	v_div_scale_f64 v[17:18], vcc_lo, v[13:14], v[6:7], v[13:14]
	v_mul_f64 v[19:20], v[17:18], v[15:16]
	v_fma_f64 v[11:12], -v[11:12], v[19:20], v[17:18]
	v_div_fmas_f64 v[11:12], v[11:12], v[15:16], v[19:20]
                                        ; implicit-def: $vgpr15_vgpr16
	v_div_fixup_f64 v[6:7], v[11:12], v[6:7], v[13:14]
                                        ; implicit-def: $vgpr11_vgpr12
                                        ; implicit-def: $vgpr13_vgpr14
.LBB7_81:
	s_andn2_saveexec_b32 s0, s0
	s_cbranch_execz .LBB7_83
; %bb.82:
	v_cmp_gt_f64_e64 s2, 0x10000000, |v[11:12]|
	v_mul_f64 v[15:16], v[15:16], -0.5
	v_cndmask_b32_e64 v4, 0, 0x100, s2
	v_mul_f64 v[13:14], v[13:14], v[15:16]
	v_ldexp_f64 v[6:7], |v[11:12]|, v4
	v_cndmask_b32_e64 v4, 0, 0xffffff80, s2
	v_rsq_f64_e32 v[11:12], v[6:7]
	v_cmp_class_f64_e64 vcc_lo, v[6:7], 0x260
	v_mul_f64 v[17:18], v[6:7], v[11:12]
	v_mul_f64 v[11:12], v[11:12], 0.5
	v_fma_f64 v[19:20], -v[11:12], v[17:18], 0.5
	v_fma_f64 v[17:18], v[17:18], v[19:20], v[17:18]
	v_fma_f64 v[11:12], v[11:12], v[19:20], v[11:12]
	v_fma_f64 v[19:20], -v[17:18], v[17:18], v[6:7]
	v_fma_f64 v[17:18], v[19:20], v[11:12], v[17:18]
	v_fma_f64 v[19:20], -v[17:18], v[17:18], v[6:7]
	v_fma_f64 v[11:12], v[19:20], v[11:12], v[17:18]
	v_ldexp_f64 v[11:12], v[11:12], v4
	v_cndmask_b32_e32 v7, v12, v7, vcc_lo
	v_cndmask_b32_e32 v6, v11, v6, vcc_lo
	v_div_scale_f64 v[11:12], null, v[6:7], v[6:7], v[13:14]
	v_rcp_f64_e32 v[15:16], v[11:12]
	v_fma_f64 v[17:18], -v[11:12], v[15:16], 1.0
	v_fma_f64 v[15:16], v[15:16], v[17:18], v[15:16]
	v_fma_f64 v[17:18], -v[11:12], v[15:16], 1.0
	v_fma_f64 v[15:16], v[15:16], v[17:18], v[15:16]
	v_div_scale_f64 v[17:18], vcc_lo, v[13:14], v[6:7], v[13:14]
	v_mul_f64 v[19:20], v[17:18], v[15:16]
	v_fma_f64 v[11:12], -v[11:12], v[19:20], v[17:18]
	v_div_fmas_f64 v[11:12], v[11:12], v[15:16], v[19:20]
	v_div_fixup_f64 v[6:7], v[11:12], v[6:7], v[13:14]
.LBB7_83:
	s_or_b32 exec_lo, exec_lo, s0
.LBB7_84:
	s_or_b32 exec_lo, exec_lo, s1
	global_load_dwordx2 v[11:12], v10, s[6:7]
                                        ; implicit-def: $vgpr9_vgpr10
	s_waitcnt vmcnt(0)
	v_cmp_ge_f64_e64 s0, 0x40200000, |v[11:12]|
	s_and_saveexec_b32 s1, s0
	s_xor_b32 s0, exec_lo, s1
	s_cbranch_execz .LBB7_90
; %bb.85:
	v_fma_f64 v[9:10], |v[11:12]|, 0.5, -2.0
	s_mov_b32 s2, 0xc38a0576
	s_mov_b32 s3, 0xbc7857d0
	;; [unrolled: 1-line block ×4, first 2 shown]
	s_mov_b32 s1, exec_lo
	v_fma_f64 v[13:14], v[9:10], s[8:9], s[2:3]
	s_mov_b32 s9, 0xbc499f2a
	s_mov_b32 s2, 0xe593bfac
	;; [unrolled: 1-line block ×3, first 2 shown]
	v_fma_f64 v[15:16], v[9:10], v[13:14], s[8:9]
	s_mov_b32 s8, 0x3b39803f
	s_mov_b32 s9, 0xbc7abc9e
	v_add_f64 v[15:16], v[15:16], s[2:3]
	s_mov_b32 s2, 0x7e0d1573
	s_mov_b32 s3, 0xbcd3eaaa
	v_fma_f64 v[13:14], v[9:10], v[15:16], -v[13:14]
	v_add_f64 v[13:14], v[13:14], s[2:3]
	s_mov_b32 s2, 0x615290c
	s_mov_b32 s3, 0x3d011d7f
	v_fma_f64 v[15:16], v[9:10], v[13:14], -v[15:16]
	;; [unrolled: 4-line block ×20, first 2 shown]
	v_add_f64 v[15:16], v[15:16], s[2:3]
	s_mov_b32 s2, 0x652b82fe
	s_mov_b32 s3, 0x3ff71547
	v_mul_f64 v[17:18], |v[11:12]|, s[2:3]
	s_mov_b32 s2, 0x7913a26a
	s_mov_b32 s3, 0xbf85a29f
	v_fma_f64 v[13:14], v[9:10], v[15:16], -v[13:14]
	v_rndne_f64_e32 v[17:18], v[17:18]
	v_add_f64 v[13:14], v[13:14], s[2:3]
	s_mov_b32 s2, 0xfefa39ef
	s_mov_b32 s3, 0xbfe62e42
	v_fma_f64 v[19:20], v[17:18], s[2:3], |v[11:12]|
	s_mov_b32 s2, 0xe7bb2349
	s_mov_b32 s3, 0x3f9951e3
	v_cvt_i32_f64_e32 v4, v[17:18]
	v_fma_f64 v[15:16], v[9:10], v[13:14], -v[15:16]
	v_fma_f64 v[19:20], v[17:18], s[8:9], v[19:20]
	s_mov_b32 s8, 0x6a5dcb37
	s_mov_b32 s9, 0x3e5ade15
	v_add_f64 v[15:16], v[15:16], s[2:3]
	s_mov_b32 s2, 0xfca7ab0c
	s_mov_b32 s3, 0x3e928af3
	v_fma_f64 v[21:22], v[19:20], s[8:9], s[2:3]
	s_mov_b32 s2, 0x537c9ebc
	s_mov_b32 s8, 0x623fde64
	;; [unrolled: 1-line block ×4, first 2 shown]
	v_fma_f64 v[13:14], v[9:10], v[15:16], -v[13:14]
	v_fma_f64 v[21:22], v[19:20], v[21:22], s[8:9]
	s_mov_b32 s8, 0x14761f6e
	s_mov_b32 s9, 0x3f2a01a0
	v_add_f64 v[13:14], v[13:14], s[2:3]
	s_mov_b32 s2, 0x7c89e6b0
	s_mov_b32 s3, 0x3efa0199
	v_fma_f64 v[21:22], v[19:20], v[21:22], s[2:3]
	s_mov_b32 s2, 0xd536f53c
	s_mov_b32 s3, 0x3fba46da
	v_fma_f64 v[15:16], v[9:10], v[13:14], -v[15:16]
	v_fma_f64 v[21:22], v[19:20], v[21:22], s[8:9]
	s_mov_b32 s8, 0x11122322
	s_mov_b32 s9, 0x3f811111
	v_add_f64 v[15:16], v[15:16], s[2:3]
	s_mov_b32 s2, 0x1852b7b0
	s_mov_b32 s3, 0x3f56c16c
	v_fma_f64 v[21:22], v[19:20], v[21:22], s[2:3]
	s_mov_b32 s2, 0x469192e
	s_mov_b32 s3, 0xbfc694d1
	;; [unrolled: 10-line block ×3, first 2 shown]
	v_fma_f64 v[9:10], v[9:10], v[13:14], -v[15:16]
	v_fma_f64 v[13:14], v[19:20], v[21:22], s[8:9]
	v_add_f64 v[9:10], v[9:10], s[2:3]
	s_mov_b32 s2, 11
	s_mov_b32 s3, 0x3fe00000
	v_fma_f64 v[13:14], v[19:20], v[13:14], s[2:3]
	v_add_f64 v[9:10], v[9:10], -v[15:16]
	v_fma_f64 v[13:14], v[19:20], v[13:14], 1.0
	v_mul_f64 v[9:10], v[9:10], 0.5
	v_fma_f64 v[15:16], v[19:20], v[13:14], 1.0
	v_mul_f64 v[13:14], |v[11:12]|, v[9:10]
                                        ; implicit-def: $vgpr9_vgpr10
	v_cmpx_ngt_f64_e32 0, v[11:12]
	s_xor_b32 s1, exec_lo, s1
	s_cbranch_execz .LBB7_87
; %bb.86:
	v_ldexp_f64 v[9:10], v[15:16], v4
	v_cmp_nlt_f64_e64 vcc_lo, 0x40900000, |v[11:12]|
                                        ; implicit-def: $vgpr15_vgpr16
                                        ; implicit-def: $vgpr4
                                        ; implicit-def: $vgpr11_vgpr12
	v_cndmask_b32_e32 v10, 0x7ff00000, v10, vcc_lo
	v_cndmask_b32_e32 v9, 0, v9, vcc_lo
	v_mul_f64 v[9:10], v[9:10], v[13:14]
                                        ; implicit-def: $vgpr13_vgpr14
.LBB7_87:
	s_andn2_saveexec_b32 s1, s1
	s_cbranch_execz .LBB7_89
; %bb.88:
	v_ldexp_f64 v[9:10], -v[15:16], v4
	v_cmp_nlt_f64_e64 vcc_lo, 0x40900000, |v[11:12]|
	v_cndmask_b32_e32 v10, 0xfff00000, v10, vcc_lo
	v_cndmask_b32_e32 v9, 0, v9, vcc_lo
	v_mul_f64 v[9:10], v[9:10], v[13:14]
.LBB7_89:
	s_or_b32 exec_lo, exec_lo, s1
                                        ; implicit-def: $vgpr11_vgpr12
.LBB7_90:
	s_andn2_saveexec_b32 s1, s0
	s_cbranch_execz .LBB7_96
; %bb.91:
	v_and_b32_e32 v10, 0x7fffffff, v12
	v_mov_b32_e32 v9, v11
	s_mov_b32 s2, 0xea87b950
	s_mov_b32 s3, 0x3c545b8a
	;; [unrolled: 1-line block ×4, first 2 shown]
	v_div_scale_f64 v[13:14], null, v[9:10], v[9:10], 0x40400000
	v_div_scale_f64 v[9:10], vcc_lo, 0x40400000, v[9:10], 0x40400000
	v_cmp_ngt_f64_e64 s0, 0, v[11:12]
	v_rcp_f64_e32 v[15:16], v[13:14]
	v_fma_f64 v[17:18], -v[13:14], v[15:16], 1.0
	v_fma_f64 v[15:16], v[15:16], v[17:18], v[15:16]
	v_fma_f64 v[17:18], -v[13:14], v[15:16], 1.0
	v_fma_f64 v[15:16], v[15:16], v[17:18], v[15:16]
	v_mul_f64 v[17:18], v[9:10], v[15:16]
	v_fma_f64 v[9:10], -v[13:14], v[17:18], v[9:10]
	v_div_fmas_f64 v[9:10], v[9:10], v[15:16], v[17:18]
	v_cmp_nlt_f64_e64 vcc_lo, 0x40900000, |v[11:12]|
	v_div_fixup_f64 v[9:10], v[9:10], |v[11:12]|, 0x40400000
	v_add_f64 v[9:10], v[9:10], -2.0
	v_fma_f64 v[13:14], v[9:10], s[8:9], s[2:3]
	s_mov_b32 s9, 0xbc61556d
	s_mov_b32 s2, 0xb2532277
	;; [unrolled: 1-line block ×3, first 2 shown]
	v_fma_f64 v[15:16], v[9:10], v[13:14], s[8:9]
	s_mov_b32 s8, 0x6a5dcb37
	s_mov_b32 s9, 0x3e5ade15
	v_add_f64 v[15:16], v[15:16], s[2:3]
	s_mov_b32 s2, 0x9c773320
	s_mov_b32 s3, 0xbc82806c
	v_fma_f64 v[13:14], v[9:10], v[15:16], -v[13:14]
	v_add_f64 v[13:14], v[13:14], s[2:3]
	s_mov_b32 s2, 0xfceb588a
	s_mov_b32 s3, 0x3cb55915
	v_fma_f64 v[15:16], v[9:10], v[13:14], -v[15:16]
	;; [unrolled: 4-line block ×14, first 2 shown]
	v_add_f64 v[15:16], v[15:16], s[2:3]
	s_mov_b32 s2, 0x652b82fe
	s_mov_b32 s3, 0x3ff71547
	v_mul_f64 v[17:18], |v[11:12]|, s[2:3]
	s_mov_b32 s2, 0x5423dd80
	s_mov_b32 s3, 0xbe0334ca
	v_fma_f64 v[13:14], v[9:10], v[15:16], -v[13:14]
	v_rndne_f64_e32 v[17:18], v[17:18]
	v_add_f64 v[13:14], v[13:14], s[2:3]
	s_mov_b32 s2, 0xfefa39ef
	s_mov_b32 s3, 0xbfe62e42
	v_fma_f64 v[19:20], v[17:18], s[2:3], |v[11:12]|
	s_mov_b32 s2, 0x9ad53528
	s_mov_b32 s3, 0xbe30790b
	v_cvt_i32_f64_e32 v4, v[17:18]
	v_fma_f64 v[15:16], v[9:10], v[13:14], -v[15:16]
	v_add_f64 v[15:16], v[15:16], s[2:3]
	s_mov_b32 s2, 0x3b39803f
	s_mov_b32 s3, 0xbc7abc9e
	v_fma_f64 v[19:20], v[17:18], s[2:3], v[19:20]
	s_mov_b32 s2, 0xfca7ab0c
	s_mov_b32 s3, 0x3e928af3
	v_fma_f64 v[13:14], v[9:10], v[15:16], -v[13:14]
	v_fma_f64 v[21:22], v[19:20], s[8:9], s[2:3]
	s_mov_b32 s2, 0x94bb46c1
	s_mov_b32 s3, 0xbe5c4153
	v_add_f64 v[13:14], v[13:14], s[2:3]
	s_mov_b32 s2, 0x623fde64
	s_mov_b32 s3, 0x3ec71dee
	v_fma_f64 v[21:22], v[19:20], v[21:22], s[2:3]
	s_mov_b32 s2, 0x7c89e6b0
	s_mov_b32 s3, 0x3efa0199
	v_fma_f64 v[15:16], v[9:10], v[13:14], -v[15:16]
	v_fma_f64 v[21:22], v[19:20], v[21:22], s[2:3]
	s_mov_b32 s2, 0x2e9e5443
	s_mov_b32 s3, 0xbe90dbfd
	;; [unrolled: 10-line block ×5, first 2 shown]
	v_add_f64 v[13:14], v[13:14], s[2:3]
	s_mov_b32 s2, 0xb55b1514
	s_mov_b32 s3, 0x3fe8ea18
	v_fma_f64 v[21:22], v[19:20], v[21:22], 1.0
	v_fma_f64 v[9:10], v[9:10], v[13:14], -v[15:16]
	v_fma_f64 v[13:14], v[19:20], v[21:22], 1.0
	v_add_f64 v[9:10], v[9:10], s[2:3]
	v_ldexp_f64 v[13:14], v[13:14], v4
	v_add_f64 v[15:16], v[9:10], -v[15:16]
                                        ; implicit-def: $vgpr9_vgpr10
	v_cndmask_b32_e32 v14, 0x7ff00000, v14, vcc_lo
	v_cndmask_b32_e32 v13, 0, v13, vcc_lo
	s_and_saveexec_b32 s2, s0
	s_xor_b32 s0, exec_lo, s2
	s_cbranch_execz .LBB7_93
; %bb.92:
	v_cmp_gt_f64_e64 s2, 0x10000000, |v[11:12]|
	v_mul_f64 v[15:16], v[15:16], 0.5
	v_cndmask_b32_e64 v4, 0, 0x100, s2
	v_mul_f64 v[13:14], v[13:14], v[15:16]
	v_ldexp_f64 v[9:10], |v[11:12]|, v4
	v_cndmask_b32_e64 v4, 0, 0xffffff80, s2
	v_rsq_f64_e32 v[11:12], v[9:10]
	v_cmp_class_f64_e64 vcc_lo, v[9:10], 0x260
	v_mul_f64 v[17:18], v[9:10], v[11:12]
	v_mul_f64 v[11:12], v[11:12], 0.5
	v_fma_f64 v[19:20], -v[11:12], v[17:18], 0.5
	v_fma_f64 v[17:18], v[17:18], v[19:20], v[17:18]
	v_fma_f64 v[11:12], v[11:12], v[19:20], v[11:12]
	v_fma_f64 v[19:20], -v[17:18], v[17:18], v[9:10]
	v_fma_f64 v[17:18], v[19:20], v[11:12], v[17:18]
	v_fma_f64 v[19:20], -v[17:18], v[17:18], v[9:10]
	v_fma_f64 v[11:12], v[19:20], v[11:12], v[17:18]
	v_ldexp_f64 v[11:12], v[11:12], v4
	v_cndmask_b32_e32 v10, v12, v10, vcc_lo
	v_cndmask_b32_e32 v9, v11, v9, vcc_lo
	v_div_scale_f64 v[11:12], null, v[9:10], v[9:10], v[13:14]
	v_rcp_f64_e32 v[15:16], v[11:12]
	v_fma_f64 v[17:18], -v[11:12], v[15:16], 1.0
	v_fma_f64 v[15:16], v[15:16], v[17:18], v[15:16]
	v_fma_f64 v[17:18], -v[11:12], v[15:16], 1.0
	v_fma_f64 v[15:16], v[15:16], v[17:18], v[15:16]
	v_div_scale_f64 v[17:18], vcc_lo, v[13:14], v[9:10], v[13:14]
	v_mul_f64 v[19:20], v[17:18], v[15:16]
	v_fma_f64 v[11:12], -v[11:12], v[19:20], v[17:18]
	v_div_fmas_f64 v[11:12], v[11:12], v[15:16], v[19:20]
                                        ; implicit-def: $vgpr15_vgpr16
	v_div_fixup_f64 v[9:10], v[11:12], v[9:10], v[13:14]
                                        ; implicit-def: $vgpr11_vgpr12
                                        ; implicit-def: $vgpr13_vgpr14
.LBB7_93:
	s_andn2_saveexec_b32 s0, s0
	s_cbranch_execz .LBB7_95
; %bb.94:
	v_cmp_gt_f64_e64 s2, 0x10000000, |v[11:12]|
	v_mul_f64 v[15:16], v[15:16], -0.5
	v_cndmask_b32_e64 v4, 0, 0x100, s2
	v_mul_f64 v[13:14], v[13:14], v[15:16]
	v_ldexp_f64 v[9:10], |v[11:12]|, v4
	v_cndmask_b32_e64 v4, 0, 0xffffff80, s2
	v_rsq_f64_e32 v[11:12], v[9:10]
	v_cmp_class_f64_e64 vcc_lo, v[9:10], 0x260
	v_mul_f64 v[17:18], v[9:10], v[11:12]
	v_mul_f64 v[11:12], v[11:12], 0.5
	v_fma_f64 v[19:20], -v[11:12], v[17:18], 0.5
	v_fma_f64 v[17:18], v[17:18], v[19:20], v[17:18]
	v_fma_f64 v[11:12], v[11:12], v[19:20], v[11:12]
	v_fma_f64 v[19:20], -v[17:18], v[17:18], v[9:10]
	v_fma_f64 v[17:18], v[19:20], v[11:12], v[17:18]
	v_fma_f64 v[19:20], -v[17:18], v[17:18], v[9:10]
	v_fma_f64 v[11:12], v[19:20], v[11:12], v[17:18]
	v_ldexp_f64 v[11:12], v[11:12], v4
	v_cndmask_b32_e32 v10, v12, v10, vcc_lo
	v_cndmask_b32_e32 v9, v11, v9, vcc_lo
	v_div_scale_f64 v[11:12], null, v[9:10], v[9:10], v[13:14]
	v_rcp_f64_e32 v[15:16], v[11:12]
	v_fma_f64 v[17:18], -v[11:12], v[15:16], 1.0
	v_fma_f64 v[15:16], v[15:16], v[17:18], v[15:16]
	v_fma_f64 v[17:18], -v[11:12], v[15:16], 1.0
	v_fma_f64 v[15:16], v[15:16], v[17:18], v[15:16]
	v_div_scale_f64 v[17:18], vcc_lo, v[13:14], v[9:10], v[13:14]
	v_mul_f64 v[19:20], v[17:18], v[15:16]
	v_fma_f64 v[11:12], -v[11:12], v[19:20], v[17:18]
	v_div_fmas_f64 v[11:12], v[11:12], v[15:16], v[19:20]
	v_div_fixup_f64 v[9:10], v[11:12], v[9:10], v[13:14]
.LBB7_95:
	s_or_b32 exec_lo, exec_lo, s0
.LBB7_96:
	s_or_b32 exec_lo, exec_lo, s1
	global_load_dwordx2 v[13:14], v8, s[6:7]
                                        ; implicit-def: $vgpr11_vgpr12
	s_waitcnt vmcnt(0)
	v_cmp_ge_f64_e64 s0, 0x40200000, |v[13:14]|
	s_and_saveexec_b32 s1, s0
	s_xor_b32 s0, exec_lo, s1
	s_cbranch_execz .LBB7_102
; %bb.97:
	v_fma_f64 v[11:12], |v[13:14]|, 0.5, -2.0
	s_mov_b32 s2, 0xc38a0576
	s_mov_b32 s3, 0xbc7857d0
	;; [unrolled: 1-line block ×4, first 2 shown]
	s_mov_b32 s1, exec_lo
	v_fma_f64 v[15:16], v[11:12], s[8:9], s[2:3]
	s_mov_b32 s9, 0xbc499f2a
	s_mov_b32 s2, 0xe593bfac
	;; [unrolled: 1-line block ×3, first 2 shown]
	v_fma_f64 v[17:18], v[11:12], v[15:16], s[8:9]
	s_mov_b32 s8, 0x3b39803f
	s_mov_b32 s9, 0xbc7abc9e
	v_add_f64 v[17:18], v[17:18], s[2:3]
	s_mov_b32 s2, 0x7e0d1573
	s_mov_b32 s3, 0xbcd3eaaa
	v_fma_f64 v[15:16], v[11:12], v[17:18], -v[15:16]
	v_add_f64 v[15:16], v[15:16], s[2:3]
	s_mov_b32 s2, 0x615290c
	s_mov_b32 s3, 0x3d011d7f
	v_fma_f64 v[17:18], v[11:12], v[15:16], -v[17:18]
	;; [unrolled: 4-line block ×20, first 2 shown]
	v_add_f64 v[17:18], v[17:18], s[2:3]
	s_mov_b32 s2, 0x652b82fe
	s_mov_b32 s3, 0x3ff71547
	v_mul_f64 v[19:20], |v[13:14]|, s[2:3]
	s_mov_b32 s2, 0x7913a26a
	s_mov_b32 s3, 0xbf85a29f
	v_fma_f64 v[15:16], v[11:12], v[17:18], -v[15:16]
	v_rndne_f64_e32 v[19:20], v[19:20]
	v_add_f64 v[15:16], v[15:16], s[2:3]
	s_mov_b32 s2, 0xfefa39ef
	s_mov_b32 s3, 0xbfe62e42
	v_fma_f64 v[21:22], v[19:20], s[2:3], |v[13:14]|
	s_mov_b32 s2, 0xe7bb2349
	s_mov_b32 s3, 0x3f9951e3
	v_cvt_i32_f64_e32 v4, v[19:20]
	v_fma_f64 v[17:18], v[11:12], v[15:16], -v[17:18]
	v_fma_f64 v[21:22], v[19:20], s[8:9], v[21:22]
	s_mov_b32 s8, 0x6a5dcb37
	s_mov_b32 s9, 0x3e5ade15
	v_add_f64 v[17:18], v[17:18], s[2:3]
	s_mov_b32 s2, 0xfca7ab0c
	s_mov_b32 s3, 0x3e928af3
	v_fma_f64 v[23:24], v[21:22], s[8:9], s[2:3]
	s_mov_b32 s2, 0x537c9ebc
	s_mov_b32 s8, 0x623fde64
	;; [unrolled: 1-line block ×4, first 2 shown]
	v_fma_f64 v[15:16], v[11:12], v[17:18], -v[15:16]
	v_fma_f64 v[23:24], v[21:22], v[23:24], s[8:9]
	s_mov_b32 s8, 0x14761f6e
	s_mov_b32 s9, 0x3f2a01a0
	v_add_f64 v[15:16], v[15:16], s[2:3]
	s_mov_b32 s2, 0x7c89e6b0
	s_mov_b32 s3, 0x3efa0199
	v_fma_f64 v[23:24], v[21:22], v[23:24], s[2:3]
	s_mov_b32 s2, 0xd536f53c
	s_mov_b32 s3, 0x3fba46da
	v_fma_f64 v[17:18], v[11:12], v[15:16], -v[17:18]
	v_fma_f64 v[23:24], v[21:22], v[23:24], s[8:9]
	s_mov_b32 s8, 0x11122322
	s_mov_b32 s9, 0x3f811111
	v_add_f64 v[17:18], v[17:18], s[2:3]
	s_mov_b32 s2, 0x1852b7b0
	s_mov_b32 s3, 0x3f56c16c
	v_fma_f64 v[23:24], v[21:22], v[23:24], s[2:3]
	s_mov_b32 s2, 0x469192e
	s_mov_b32 s3, 0xbfc694d1
	;; [unrolled: 10-line block ×3, first 2 shown]
	v_fma_f64 v[11:12], v[11:12], v[15:16], -v[17:18]
	v_fma_f64 v[15:16], v[21:22], v[23:24], s[8:9]
	v_add_f64 v[11:12], v[11:12], s[2:3]
	s_mov_b32 s2, 11
	s_mov_b32 s3, 0x3fe00000
	v_fma_f64 v[15:16], v[21:22], v[15:16], s[2:3]
	v_add_f64 v[11:12], v[11:12], -v[17:18]
	v_fma_f64 v[15:16], v[21:22], v[15:16], 1.0
	v_mul_f64 v[11:12], v[11:12], 0.5
	v_fma_f64 v[17:18], v[21:22], v[15:16], 1.0
	v_mul_f64 v[15:16], |v[13:14]|, v[11:12]
                                        ; implicit-def: $vgpr11_vgpr12
	v_cmpx_ngt_f64_e32 0, v[13:14]
	s_xor_b32 s1, exec_lo, s1
	s_cbranch_execz .LBB7_99
; %bb.98:
	v_ldexp_f64 v[11:12], v[17:18], v4
	v_cmp_nlt_f64_e64 vcc_lo, 0x40900000, |v[13:14]|
                                        ; implicit-def: $vgpr17_vgpr18
                                        ; implicit-def: $vgpr4
                                        ; implicit-def: $vgpr13_vgpr14
	v_cndmask_b32_e32 v12, 0x7ff00000, v12, vcc_lo
	v_cndmask_b32_e32 v11, 0, v11, vcc_lo
	v_mul_f64 v[11:12], v[11:12], v[15:16]
                                        ; implicit-def: $vgpr15_vgpr16
.LBB7_99:
	s_andn2_saveexec_b32 s1, s1
	s_cbranch_execz .LBB7_101
; %bb.100:
	v_ldexp_f64 v[11:12], -v[17:18], v4
	v_cmp_nlt_f64_e64 vcc_lo, 0x40900000, |v[13:14]|
	v_cndmask_b32_e32 v12, 0xfff00000, v12, vcc_lo
	v_cndmask_b32_e32 v11, 0, v11, vcc_lo
	v_mul_f64 v[11:12], v[11:12], v[15:16]
.LBB7_101:
	s_or_b32 exec_lo, exec_lo, s1
                                        ; implicit-def: $vgpr13_vgpr14
.LBB7_102:
	s_andn2_saveexec_b32 s1, s0
	s_cbranch_execz .LBB7_108
; %bb.103:
	v_and_b32_e32 v12, 0x7fffffff, v14
	v_mov_b32_e32 v11, v13
	s_mov_b32 s2, 0xea87b950
	s_mov_b32 s3, 0x3c545b8a
	;; [unrolled: 1-line block ×4, first 2 shown]
	v_div_scale_f64 v[15:16], null, v[11:12], v[11:12], 0x40400000
	v_div_scale_f64 v[11:12], vcc_lo, 0x40400000, v[11:12], 0x40400000
	v_cmp_ngt_f64_e64 s0, 0, v[13:14]
	v_rcp_f64_e32 v[17:18], v[15:16]
	v_fma_f64 v[19:20], -v[15:16], v[17:18], 1.0
	v_fma_f64 v[17:18], v[17:18], v[19:20], v[17:18]
	v_fma_f64 v[19:20], -v[15:16], v[17:18], 1.0
	v_fma_f64 v[17:18], v[17:18], v[19:20], v[17:18]
	v_mul_f64 v[19:20], v[11:12], v[17:18]
	v_fma_f64 v[11:12], -v[15:16], v[19:20], v[11:12]
	v_div_fmas_f64 v[11:12], v[11:12], v[17:18], v[19:20]
	v_cmp_nlt_f64_e64 vcc_lo, 0x40900000, |v[13:14]|
	v_div_fixup_f64 v[11:12], v[11:12], |v[13:14]|, 0x40400000
	v_add_f64 v[11:12], v[11:12], -2.0
	v_fma_f64 v[15:16], v[11:12], s[8:9], s[2:3]
	s_mov_b32 s9, 0xbc61556d
	s_mov_b32 s2, 0xb2532277
	s_mov_b32 s3, 0xbc8acea3
	v_fma_f64 v[17:18], v[11:12], v[15:16], s[8:9]
	s_mov_b32 s8, 0x6a5dcb37
	s_mov_b32 s9, 0x3e5ade15
	v_add_f64 v[17:18], v[17:18], s[2:3]
	s_mov_b32 s2, 0x9c773320
	s_mov_b32 s3, 0xbc82806c
	v_fma_f64 v[15:16], v[11:12], v[17:18], -v[15:16]
	v_add_f64 v[15:16], v[15:16], s[2:3]
	s_mov_b32 s2, 0xfceb588a
	s_mov_b32 s3, 0x3cb55915
	v_fma_f64 v[17:18], v[11:12], v[15:16], -v[17:18]
	;; [unrolled: 4-line block ×14, first 2 shown]
	v_add_f64 v[17:18], v[17:18], s[2:3]
	s_mov_b32 s2, 0x652b82fe
	s_mov_b32 s3, 0x3ff71547
	v_mul_f64 v[19:20], |v[13:14]|, s[2:3]
	s_mov_b32 s2, 0x5423dd80
	s_mov_b32 s3, 0xbe0334ca
	v_fma_f64 v[15:16], v[11:12], v[17:18], -v[15:16]
	v_rndne_f64_e32 v[19:20], v[19:20]
	v_add_f64 v[15:16], v[15:16], s[2:3]
	s_mov_b32 s2, 0xfefa39ef
	s_mov_b32 s3, 0xbfe62e42
	v_fma_f64 v[21:22], v[19:20], s[2:3], |v[13:14]|
	s_mov_b32 s2, 0x9ad53528
	s_mov_b32 s3, 0xbe30790b
	v_cvt_i32_f64_e32 v4, v[19:20]
	v_fma_f64 v[17:18], v[11:12], v[15:16], -v[17:18]
	v_add_f64 v[17:18], v[17:18], s[2:3]
	s_mov_b32 s2, 0x3b39803f
	s_mov_b32 s3, 0xbc7abc9e
	v_fma_f64 v[21:22], v[19:20], s[2:3], v[21:22]
	s_mov_b32 s2, 0xfca7ab0c
	s_mov_b32 s3, 0x3e928af3
	v_fma_f64 v[15:16], v[11:12], v[17:18], -v[15:16]
	v_fma_f64 v[23:24], v[21:22], s[8:9], s[2:3]
	s_mov_b32 s2, 0x94bb46c1
	s_mov_b32 s3, 0xbe5c4153
	v_add_f64 v[15:16], v[15:16], s[2:3]
	s_mov_b32 s2, 0x623fde64
	s_mov_b32 s3, 0x3ec71dee
	v_fma_f64 v[23:24], v[21:22], v[23:24], s[2:3]
	s_mov_b32 s2, 0x7c89e6b0
	s_mov_b32 s3, 0x3efa0199
	v_fma_f64 v[17:18], v[11:12], v[15:16], -v[17:18]
	v_fma_f64 v[23:24], v[21:22], v[23:24], s[2:3]
	s_mov_b32 s2, 0x2e9e5443
	s_mov_b32 s3, 0xbe90dbfd
	;; [unrolled: 10-line block ×5, first 2 shown]
	v_add_f64 v[15:16], v[15:16], s[2:3]
	s_mov_b32 s2, 0xb55b1514
	s_mov_b32 s3, 0x3fe8ea18
	v_fma_f64 v[23:24], v[21:22], v[23:24], 1.0
	v_fma_f64 v[11:12], v[11:12], v[15:16], -v[17:18]
	v_fma_f64 v[15:16], v[21:22], v[23:24], 1.0
	v_add_f64 v[11:12], v[11:12], s[2:3]
	v_ldexp_f64 v[15:16], v[15:16], v4
	v_add_f64 v[17:18], v[11:12], -v[17:18]
                                        ; implicit-def: $vgpr11_vgpr12
	v_cndmask_b32_e32 v16, 0x7ff00000, v16, vcc_lo
	v_cndmask_b32_e32 v15, 0, v15, vcc_lo
	s_and_saveexec_b32 s2, s0
	s_xor_b32 s0, exec_lo, s2
	s_cbranch_execz .LBB7_105
; %bb.104:
	v_cmp_gt_f64_e64 s2, 0x10000000, |v[13:14]|
	v_mul_f64 v[17:18], v[17:18], 0.5
	v_cndmask_b32_e64 v4, 0, 0x100, s2
	v_mul_f64 v[15:16], v[15:16], v[17:18]
	v_ldexp_f64 v[11:12], |v[13:14]|, v4
	v_cndmask_b32_e64 v4, 0, 0xffffff80, s2
	v_rsq_f64_e32 v[13:14], v[11:12]
	v_cmp_class_f64_e64 vcc_lo, v[11:12], 0x260
	v_mul_f64 v[19:20], v[11:12], v[13:14]
	v_mul_f64 v[13:14], v[13:14], 0.5
	v_fma_f64 v[21:22], -v[13:14], v[19:20], 0.5
	v_fma_f64 v[19:20], v[19:20], v[21:22], v[19:20]
	v_fma_f64 v[13:14], v[13:14], v[21:22], v[13:14]
	v_fma_f64 v[21:22], -v[19:20], v[19:20], v[11:12]
	v_fma_f64 v[19:20], v[21:22], v[13:14], v[19:20]
	v_fma_f64 v[21:22], -v[19:20], v[19:20], v[11:12]
	v_fma_f64 v[13:14], v[21:22], v[13:14], v[19:20]
	v_ldexp_f64 v[13:14], v[13:14], v4
	v_cndmask_b32_e32 v12, v14, v12, vcc_lo
	v_cndmask_b32_e32 v11, v13, v11, vcc_lo
	v_div_scale_f64 v[13:14], null, v[11:12], v[11:12], v[15:16]
	v_rcp_f64_e32 v[17:18], v[13:14]
	v_fma_f64 v[19:20], -v[13:14], v[17:18], 1.0
	v_fma_f64 v[17:18], v[17:18], v[19:20], v[17:18]
	v_fma_f64 v[19:20], -v[13:14], v[17:18], 1.0
	v_fma_f64 v[17:18], v[17:18], v[19:20], v[17:18]
	v_div_scale_f64 v[19:20], vcc_lo, v[15:16], v[11:12], v[15:16]
	v_mul_f64 v[21:22], v[19:20], v[17:18]
	v_fma_f64 v[13:14], -v[13:14], v[21:22], v[19:20]
	v_div_fmas_f64 v[13:14], v[13:14], v[17:18], v[21:22]
                                        ; implicit-def: $vgpr17_vgpr18
	v_div_fixup_f64 v[11:12], v[13:14], v[11:12], v[15:16]
                                        ; implicit-def: $vgpr13_vgpr14
                                        ; implicit-def: $vgpr15_vgpr16
.LBB7_105:
	s_andn2_saveexec_b32 s0, s0
	s_cbranch_execz .LBB7_107
; %bb.106:
	v_cmp_gt_f64_e64 s2, 0x10000000, |v[13:14]|
	v_mul_f64 v[17:18], v[17:18], -0.5
	v_cndmask_b32_e64 v4, 0, 0x100, s2
	v_mul_f64 v[15:16], v[15:16], v[17:18]
	v_ldexp_f64 v[11:12], |v[13:14]|, v4
	v_cndmask_b32_e64 v4, 0, 0xffffff80, s2
	v_rsq_f64_e32 v[13:14], v[11:12]
	v_cmp_class_f64_e64 vcc_lo, v[11:12], 0x260
	v_mul_f64 v[19:20], v[11:12], v[13:14]
	v_mul_f64 v[13:14], v[13:14], 0.5
	v_fma_f64 v[21:22], -v[13:14], v[19:20], 0.5
	v_fma_f64 v[19:20], v[19:20], v[21:22], v[19:20]
	v_fma_f64 v[13:14], v[13:14], v[21:22], v[13:14]
	v_fma_f64 v[21:22], -v[19:20], v[19:20], v[11:12]
	v_fma_f64 v[19:20], v[21:22], v[13:14], v[19:20]
	v_fma_f64 v[21:22], -v[19:20], v[19:20], v[11:12]
	v_fma_f64 v[13:14], v[21:22], v[13:14], v[19:20]
	v_ldexp_f64 v[13:14], v[13:14], v4
	v_cndmask_b32_e32 v12, v14, v12, vcc_lo
	v_cndmask_b32_e32 v11, v13, v11, vcc_lo
	v_div_scale_f64 v[13:14], null, v[11:12], v[11:12], v[15:16]
	v_rcp_f64_e32 v[17:18], v[13:14]
	v_fma_f64 v[19:20], -v[13:14], v[17:18], 1.0
	v_fma_f64 v[17:18], v[17:18], v[19:20], v[17:18]
	v_fma_f64 v[19:20], -v[13:14], v[17:18], 1.0
	v_fma_f64 v[17:18], v[17:18], v[19:20], v[17:18]
	v_div_scale_f64 v[19:20], vcc_lo, v[15:16], v[11:12], v[15:16]
	v_mul_f64 v[21:22], v[19:20], v[17:18]
	v_fma_f64 v[13:14], -v[13:14], v[21:22], v[19:20]
	v_div_fmas_f64 v[13:14], v[13:14], v[17:18], v[21:22]
	v_div_fixup_f64 v[11:12], v[13:14], v[11:12], v[15:16]
.LBB7_107:
	s_or_b32 exec_lo, exec_lo, s0
.LBB7_108:
	s_or_b32 exec_lo, exec_lo, s1
	global_load_dwordx2 v[4:5], v5, s[6:7]
                                        ; implicit-def: $vgpr13_vgpr14
	s_waitcnt vmcnt(0)
	v_cmp_ge_f64_e64 s0, 0x40200000, |v[4:5]|
	s_and_saveexec_b32 s1, s0
	s_xor_b32 s0, exec_lo, s1
	s_cbranch_execz .LBB7_114
; %bb.109:
	v_fma_f64 v[13:14], |v[4:5]|, 0.5, -2.0
	s_mov_b32 s2, 0xc38a0576
	s_mov_b32 s3, 0xbc7857d0
	;; [unrolled: 1-line block ×4, first 2 shown]
	s_mov_b32 s1, exec_lo
	v_fma_f64 v[15:16], v[13:14], s[6:7], s[2:3]
	s_mov_b32 s7, 0xbc499f2a
	s_mov_b32 s2, 0xe593bfac
	;; [unrolled: 1-line block ×3, first 2 shown]
	v_fma_f64 v[17:18], v[13:14], v[15:16], s[6:7]
	s_mov_b32 s6, 0x3b39803f
	s_mov_b32 s7, 0xbc7abc9e
	v_add_f64 v[17:18], v[17:18], s[2:3]
	s_mov_b32 s2, 0x7e0d1573
	s_mov_b32 s3, 0xbcd3eaaa
	v_fma_f64 v[15:16], v[13:14], v[17:18], -v[15:16]
	v_add_f64 v[15:16], v[15:16], s[2:3]
	s_mov_b32 s2, 0x615290c
	s_mov_b32 s3, 0x3d011d7f
	v_fma_f64 v[17:18], v[13:14], v[15:16], -v[17:18]
	v_add_f64 v[17:18], v[17:18], s[2:3]
	s_mov_b32 s2, 0x1c8f0b3b
	s_mov_b32 s3, 0xbd2c628e
	v_fma_f64 v[15:16], v[13:14], v[17:18], -v[15:16]
	v_add_f64 v[15:16], v[15:16], s[2:3]
	s_mov_b32 s2, 0x4779d955
	s_mov_b32 s3, 0x3d56af78
	v_fma_f64 v[17:18], v[13:14], v[15:16], -v[17:18]
	v_add_f64 v[17:18], v[17:18], s[2:3]
	s_mov_b32 s2, 0x5fb70366
	s_mov_b32 s3, 0xbd817383
	v_fma_f64 v[15:16], v[13:14], v[17:18], -v[15:16]
	v_add_f64 v[15:16], v[15:16], s[2:3]
	s_mov_b32 s2, 0xb21d3154
	s_mov_b32 s3, 0x3da9cee2
	v_fma_f64 v[17:18], v[13:14], v[15:16], -v[17:18]
	v_add_f64 v[17:18], v[17:18], s[2:3]
	s_mov_b32 s2, 0x97eb07de
	s_mov_b32 s3, 0xbdd25103
	v_fma_f64 v[15:16], v[13:14], v[17:18], -v[15:16]
	v_add_f64 v[15:16], v[15:16], s[2:3]
	s_mov_b32 s2, 0xb43fdf6c
	s_mov_b32 s3, 0x3df8ea34
	v_fma_f64 v[17:18], v[13:14], v[15:16], -v[17:18]
	v_add_f64 v[17:18], v[17:18], s[2:3]
	s_mov_b32 s2, 0x28ea67e6
	s_mov_b32 s3, 0xbe20361b
	v_fma_f64 v[15:16], v[13:14], v[17:18], -v[15:16]
	v_add_f64 v[15:16], v[15:16], s[2:3]
	s_mov_b32 s2, 0x2395010
	s_mov_b32 s3, 0x3e44258e
	v_fma_f64 v[17:18], v[13:14], v[15:16], -v[17:18]
	v_add_f64 v[17:18], v[17:18], s[2:3]
	s_mov_b32 s2, 0x24b8c3e8
	s_mov_b32 s3, 0xbe67dd3e
	v_fma_f64 v[15:16], v[13:14], v[17:18], -v[15:16]
	v_add_f64 v[15:16], v[15:16], s[2:3]
	s_mov_b32 s2, 0xb347d108
	s_mov_b32 s3, 0x3e8ae344
	v_fma_f64 v[17:18], v[13:14], v[15:16], -v[17:18]
	v_add_f64 v[17:18], v[17:18], s[2:3]
	s_mov_b32 s2, 0x8363992a
	s_mov_b32 s3, 0xbeacc079
	v_fma_f64 v[15:16], v[13:14], v[17:18], -v[15:16]
	v_add_f64 v[15:16], v[15:16], s[2:3]
	s_mov_b32 s2, 0xd511afc5
	s_mov_b32 s3, 0x3ecd1c4e
	v_fma_f64 v[17:18], v[13:14], v[15:16], -v[17:18]
	v_add_f64 v[17:18], v[17:18], s[2:3]
	s_mov_b32 s2, 0xb8debbcf
	s_mov_b32 s3, 0xbeebd5f9
	v_fma_f64 v[15:16], v[13:14], v[17:18], -v[15:16]
	v_add_f64 v[15:16], v[15:16], s[2:3]
	s_mov_b32 s2, 0x42c70d0b
	s_mov_b32 s3, 0x3f0911b5
	v_fma_f64 v[17:18], v[13:14], v[15:16], -v[17:18]
	v_add_f64 v[17:18], v[17:18], s[2:3]
	s_mov_b32 s2, 0xd3d694fe
	s_mov_b32 s3, 0xbf2533ca
	v_fma_f64 v[15:16], v[13:14], v[17:18], -v[15:16]
	v_add_f64 v[15:16], v[15:16], s[2:3]
	s_mov_b32 s2, 0xb6c6df7d
	s_mov_b32 s3, 0x3f40c95d
	v_fma_f64 v[17:18], v[13:14], v[15:16], -v[17:18]
	v_add_f64 v[17:18], v[17:18], s[2:3]
	s_mov_b32 s2, 0xb3cd4a4
	s_mov_b32 s3, 0xbf58cc62
	v_fma_f64 v[15:16], v[13:14], v[17:18], -v[15:16]
	v_add_f64 v[15:16], v[15:16], s[2:3]
	s_mov_b32 s2, 0x49d3a1b4
	s_mov_b32 s3, 0x3f710653
	v_fma_f64 v[17:18], v[13:14], v[15:16], -v[17:18]
	v_add_f64 v[17:18], v[17:18], s[2:3]
	s_mov_b32 s2, 0x652b82fe
	s_mov_b32 s3, 0x3ff71547
	v_mul_f64 v[19:20], |v[4:5]|, s[2:3]
	s_mov_b32 s2, 0x7913a26a
	s_mov_b32 s3, 0xbf85a29f
	v_fma_f64 v[15:16], v[13:14], v[17:18], -v[15:16]
	v_rndne_f64_e32 v[19:20], v[19:20]
	v_add_f64 v[15:16], v[15:16], s[2:3]
	s_mov_b32 s2, 0xfefa39ef
	s_mov_b32 s3, 0xbfe62e42
	v_fma_f64 v[21:22], v[19:20], s[2:3], |v[4:5]|
	s_mov_b32 s2, 0xe7bb2349
	s_mov_b32 s3, 0x3f9951e3
	v_cvt_i32_f64_e32 v8, v[19:20]
	v_fma_f64 v[17:18], v[13:14], v[15:16], -v[17:18]
	v_fma_f64 v[21:22], v[19:20], s[6:7], v[21:22]
	s_mov_b32 s6, 0x6a5dcb37
	s_mov_b32 s7, 0x3e5ade15
	v_add_f64 v[17:18], v[17:18], s[2:3]
	s_mov_b32 s2, 0xfca7ab0c
	s_mov_b32 s3, 0x3e928af3
	v_fma_f64 v[23:24], v[21:22], s[6:7], s[2:3]
	s_mov_b32 s2, 0x537c9ebc
	s_mov_b32 s6, 0x623fde64
	;; [unrolled: 1-line block ×4, first 2 shown]
	v_fma_f64 v[15:16], v[13:14], v[17:18], -v[15:16]
	v_fma_f64 v[23:24], v[21:22], v[23:24], s[6:7]
	s_mov_b32 s6, 0x14761f6e
	s_mov_b32 s7, 0x3f2a01a0
	v_add_f64 v[15:16], v[15:16], s[2:3]
	s_mov_b32 s2, 0x7c89e6b0
	s_mov_b32 s3, 0x3efa0199
	v_fma_f64 v[23:24], v[21:22], v[23:24], s[2:3]
	s_mov_b32 s2, 0xd536f53c
	s_mov_b32 s3, 0x3fba46da
	v_fma_f64 v[17:18], v[13:14], v[15:16], -v[17:18]
	v_fma_f64 v[23:24], v[21:22], v[23:24], s[6:7]
	s_mov_b32 s6, 0x11122322
	s_mov_b32 s7, 0x3f811111
	v_add_f64 v[17:18], v[17:18], s[2:3]
	s_mov_b32 s2, 0x1852b7b0
	s_mov_b32 s3, 0x3f56c16c
	v_fma_f64 v[23:24], v[21:22], v[23:24], s[2:3]
	s_mov_b32 s2, 0x469192e
	s_mov_b32 s3, 0xbfc694d1
	;; [unrolled: 10-line block ×3, first 2 shown]
	v_fma_f64 v[13:14], v[13:14], v[15:16], -v[17:18]
	v_fma_f64 v[15:16], v[21:22], v[23:24], s[6:7]
	v_add_f64 v[13:14], v[13:14], s[2:3]
	s_mov_b32 s2, 11
	s_mov_b32 s3, 0x3fe00000
	v_fma_f64 v[15:16], v[21:22], v[15:16], s[2:3]
	v_add_f64 v[13:14], v[13:14], -v[17:18]
	v_fma_f64 v[15:16], v[21:22], v[15:16], 1.0
	v_mul_f64 v[13:14], v[13:14], 0.5
	v_fma_f64 v[17:18], v[21:22], v[15:16], 1.0
	v_mul_f64 v[15:16], |v[4:5]|, v[13:14]
                                        ; implicit-def: $vgpr13_vgpr14
	v_cmpx_ngt_f64_e32 0, v[4:5]
	s_xor_b32 s1, exec_lo, s1
	s_cbranch_execz .LBB7_111
; %bb.110:
	v_ldexp_f64 v[13:14], v[17:18], v8
	v_cmp_nlt_f64_e64 vcc_lo, 0x40900000, |v[4:5]|
                                        ; implicit-def: $vgpr17_vgpr18
                                        ; implicit-def: $vgpr8
	v_cndmask_b32_e32 v5, 0x7ff00000, v14, vcc_lo
	v_cndmask_b32_e32 v4, 0, v13, vcc_lo
	v_mul_f64 v[13:14], v[4:5], v[15:16]
                                        ; implicit-def: $vgpr4_vgpr5
                                        ; implicit-def: $vgpr15_vgpr16
.LBB7_111:
	s_andn2_saveexec_b32 s1, s1
	s_cbranch_execz .LBB7_113
; %bb.112:
	v_ldexp_f64 v[13:14], -v[17:18], v8
	v_cmp_nlt_f64_e64 vcc_lo, 0x40900000, |v[4:5]|
	v_cndmask_b32_e32 v5, 0xfff00000, v14, vcc_lo
	v_cndmask_b32_e32 v4, 0, v13, vcc_lo
	v_mul_f64 v[13:14], v[4:5], v[15:16]
.LBB7_113:
	s_or_b32 exec_lo, exec_lo, s1
                                        ; implicit-def: $vgpr4_vgpr5
.LBB7_114:
	s_andn2_saveexec_b32 s1, s0
	s_cbranch_execz .LBB7_120
; %bb.115:
	v_and_b32_e32 v14, 0x7fffffff, v5
	v_mov_b32_e32 v13, v4
	s_mov_b32 s2, 0xea87b950
	s_mov_b32 s3, 0x3c545b8a
	;; [unrolled: 1-line block ×4, first 2 shown]
	v_div_scale_f64 v[15:16], null, v[13:14], v[13:14], 0x40400000
	v_div_scale_f64 v[13:14], vcc_lo, 0x40400000, v[13:14], 0x40400000
	v_cmp_ngt_f64_e64 s0, 0, v[4:5]
	v_rcp_f64_e32 v[17:18], v[15:16]
	v_fma_f64 v[19:20], -v[15:16], v[17:18], 1.0
	v_fma_f64 v[17:18], v[17:18], v[19:20], v[17:18]
	v_fma_f64 v[19:20], -v[15:16], v[17:18], 1.0
	v_fma_f64 v[17:18], v[17:18], v[19:20], v[17:18]
	v_mul_f64 v[19:20], v[13:14], v[17:18]
	v_fma_f64 v[13:14], -v[15:16], v[19:20], v[13:14]
	v_div_fmas_f64 v[13:14], v[13:14], v[17:18], v[19:20]
	v_cmp_nlt_f64_e64 vcc_lo, 0x40900000, |v[4:5]|
	v_div_fixup_f64 v[13:14], v[13:14], |v[4:5]|, 0x40400000
	v_add_f64 v[13:14], v[13:14], -2.0
	v_fma_f64 v[15:16], v[13:14], s[6:7], s[2:3]
	s_mov_b32 s7, 0xbc61556d
	s_mov_b32 s2, 0xb2532277
	;; [unrolled: 1-line block ×3, first 2 shown]
	v_fma_f64 v[17:18], v[13:14], v[15:16], s[6:7]
	s_mov_b32 s6, 0x6a5dcb37
	s_mov_b32 s7, 0x3e5ade15
	v_add_f64 v[17:18], v[17:18], s[2:3]
	s_mov_b32 s2, 0x9c773320
	s_mov_b32 s3, 0xbc82806c
	v_fma_f64 v[15:16], v[13:14], v[17:18], -v[15:16]
	v_add_f64 v[15:16], v[15:16], s[2:3]
	s_mov_b32 s2, 0xfceb588a
	s_mov_b32 s3, 0x3cb55915
	v_fma_f64 v[17:18], v[13:14], v[15:16], -v[17:18]
	;; [unrolled: 4-line block ×14, first 2 shown]
	v_add_f64 v[17:18], v[17:18], s[2:3]
	s_mov_b32 s2, 0x652b82fe
	s_mov_b32 s3, 0x3ff71547
	v_mul_f64 v[19:20], |v[4:5]|, s[2:3]
	s_mov_b32 s2, 0x5423dd80
	s_mov_b32 s3, 0xbe0334ca
	v_fma_f64 v[15:16], v[13:14], v[17:18], -v[15:16]
	v_rndne_f64_e32 v[19:20], v[19:20]
	v_add_f64 v[15:16], v[15:16], s[2:3]
	s_mov_b32 s2, 0xfefa39ef
	s_mov_b32 s3, 0xbfe62e42
	v_fma_f64 v[21:22], v[19:20], s[2:3], |v[4:5]|
	s_mov_b32 s2, 0x9ad53528
	s_mov_b32 s3, 0xbe30790b
	v_cvt_i32_f64_e32 v8, v[19:20]
	v_fma_f64 v[17:18], v[13:14], v[15:16], -v[17:18]
	v_add_f64 v[17:18], v[17:18], s[2:3]
	s_mov_b32 s2, 0x3b39803f
	s_mov_b32 s3, 0xbc7abc9e
	v_fma_f64 v[21:22], v[19:20], s[2:3], v[21:22]
	s_mov_b32 s2, 0xfca7ab0c
	s_mov_b32 s3, 0x3e928af3
	v_fma_f64 v[15:16], v[13:14], v[17:18], -v[15:16]
	v_fma_f64 v[23:24], v[21:22], s[6:7], s[2:3]
	s_mov_b32 s2, 0x94bb46c1
	s_mov_b32 s3, 0xbe5c4153
	v_add_f64 v[15:16], v[15:16], s[2:3]
	s_mov_b32 s2, 0x623fde64
	s_mov_b32 s3, 0x3ec71dee
	v_fma_f64 v[23:24], v[21:22], v[23:24], s[2:3]
	s_mov_b32 s2, 0x7c89e6b0
	s_mov_b32 s3, 0x3efa0199
	v_fma_f64 v[17:18], v[13:14], v[15:16], -v[17:18]
	v_fma_f64 v[23:24], v[21:22], v[23:24], s[2:3]
	s_mov_b32 s2, 0x2e9e5443
	s_mov_b32 s3, 0xbe90dbfd
	;; [unrolled: 10-line block ×5, first 2 shown]
	v_add_f64 v[15:16], v[15:16], s[2:3]
	s_mov_b32 s2, 0xb55b1514
	s_mov_b32 s3, 0x3fe8ea18
	v_fma_f64 v[23:24], v[21:22], v[23:24], 1.0
	v_fma_f64 v[13:14], v[13:14], v[15:16], -v[17:18]
	v_fma_f64 v[15:16], v[21:22], v[23:24], 1.0
	v_add_f64 v[13:14], v[13:14], s[2:3]
	v_ldexp_f64 v[15:16], v[15:16], v8
	v_add_f64 v[17:18], v[13:14], -v[17:18]
                                        ; implicit-def: $vgpr13_vgpr14
	v_cndmask_b32_e32 v16, 0x7ff00000, v16, vcc_lo
	v_cndmask_b32_e32 v15, 0, v15, vcc_lo
	s_and_saveexec_b32 s2, s0
	s_xor_b32 s0, exec_lo, s2
	s_cbranch_execz .LBB7_117
; %bb.116:
	v_cmp_gt_f64_e64 s2, 0x10000000, |v[4:5]|
	v_mul_f64 v[17:18], v[17:18], 0.5
	v_cndmask_b32_e64 v8, 0, 0x100, s2
	v_mul_f64 v[15:16], v[15:16], v[17:18]
	v_ldexp_f64 v[4:5], |v[4:5]|, v8
	v_cndmask_b32_e64 v8, 0, 0xffffff80, s2
	v_rsq_f64_e32 v[13:14], v[4:5]
	v_cmp_class_f64_e64 vcc_lo, v[4:5], 0x260
	v_mul_f64 v[19:20], v[4:5], v[13:14]
	v_mul_f64 v[13:14], v[13:14], 0.5
	v_fma_f64 v[21:22], -v[13:14], v[19:20], 0.5
	v_fma_f64 v[19:20], v[19:20], v[21:22], v[19:20]
	v_fma_f64 v[13:14], v[13:14], v[21:22], v[13:14]
	v_fma_f64 v[21:22], -v[19:20], v[19:20], v[4:5]
	v_fma_f64 v[19:20], v[21:22], v[13:14], v[19:20]
	v_fma_f64 v[21:22], -v[19:20], v[19:20], v[4:5]
	v_fma_f64 v[13:14], v[21:22], v[13:14], v[19:20]
	v_ldexp_f64 v[13:14], v[13:14], v8
	v_cndmask_b32_e32 v5, v14, v5, vcc_lo
	v_cndmask_b32_e32 v4, v13, v4, vcc_lo
	v_div_scale_f64 v[13:14], null, v[4:5], v[4:5], v[15:16]
	v_rcp_f64_e32 v[17:18], v[13:14]
	v_fma_f64 v[19:20], -v[13:14], v[17:18], 1.0
	v_fma_f64 v[17:18], v[17:18], v[19:20], v[17:18]
	v_fma_f64 v[19:20], -v[13:14], v[17:18], 1.0
	v_fma_f64 v[17:18], v[17:18], v[19:20], v[17:18]
	v_div_scale_f64 v[19:20], vcc_lo, v[15:16], v[4:5], v[15:16]
	v_mul_f64 v[21:22], v[19:20], v[17:18]
	v_fma_f64 v[13:14], -v[13:14], v[21:22], v[19:20]
	v_div_fmas_f64 v[13:14], v[13:14], v[17:18], v[21:22]
                                        ; implicit-def: $vgpr17_vgpr18
	v_div_fixup_f64 v[13:14], v[13:14], v[4:5], v[15:16]
                                        ; implicit-def: $vgpr4_vgpr5
                                        ; implicit-def: $vgpr15_vgpr16
.LBB7_117:
	s_andn2_saveexec_b32 s0, s0
	s_cbranch_execz .LBB7_119
; %bb.118:
	v_cmp_gt_f64_e64 s2, 0x10000000, |v[4:5]|
	v_mul_f64 v[17:18], v[17:18], -0.5
	v_cndmask_b32_e64 v8, 0, 0x100, s2
	v_mul_f64 v[15:16], v[15:16], v[17:18]
	v_ldexp_f64 v[4:5], |v[4:5]|, v8
	v_cndmask_b32_e64 v8, 0, 0xffffff80, s2
	v_rsq_f64_e32 v[13:14], v[4:5]
	v_cmp_class_f64_e64 vcc_lo, v[4:5], 0x260
	v_mul_f64 v[19:20], v[4:5], v[13:14]
	v_mul_f64 v[13:14], v[13:14], 0.5
	v_fma_f64 v[21:22], -v[13:14], v[19:20], 0.5
	v_fma_f64 v[19:20], v[19:20], v[21:22], v[19:20]
	v_fma_f64 v[13:14], v[13:14], v[21:22], v[13:14]
	v_fma_f64 v[21:22], -v[19:20], v[19:20], v[4:5]
	v_fma_f64 v[19:20], v[21:22], v[13:14], v[19:20]
	v_fma_f64 v[21:22], -v[19:20], v[19:20], v[4:5]
	v_fma_f64 v[13:14], v[21:22], v[13:14], v[19:20]
	v_ldexp_f64 v[13:14], v[13:14], v8
	v_cndmask_b32_e32 v5, v14, v5, vcc_lo
	v_cndmask_b32_e32 v4, v13, v4, vcc_lo
	v_div_scale_f64 v[13:14], null, v[4:5], v[4:5], v[15:16]
	v_rcp_f64_e32 v[17:18], v[13:14]
	v_fma_f64 v[19:20], -v[13:14], v[17:18], 1.0
	v_fma_f64 v[17:18], v[17:18], v[19:20], v[17:18]
	v_fma_f64 v[19:20], -v[13:14], v[17:18], 1.0
	v_fma_f64 v[17:18], v[17:18], v[19:20], v[17:18]
	v_div_scale_f64 v[19:20], vcc_lo, v[15:16], v[4:5], v[15:16]
	v_mul_f64 v[21:22], v[19:20], v[17:18]
	v_fma_f64 v[13:14], -v[13:14], v[21:22], v[19:20]
	v_div_fmas_f64 v[13:14], v[13:14], v[17:18], v[21:22]
	v_div_fixup_f64 v[13:14], v[13:14], v[4:5], v[15:16]
.LBB7_119:
	s_or_b32 exec_lo, exec_lo, s0
.LBB7_120:
	s_or_b32 exec_lo, exec_lo, s1
	global_store_dwordx2 v0, v[6:7], s[4:5]
	global_store_dwordx2 v1, v[9:10], s[4:5]
	;; [unrolled: 1-line block ×4, first 2 shown]
	s_endpgm
.LBB7_121:
	v_mov_b32_e32 v0, 0
	v_mov_b32_e32 v2, 0
	s_branch .LBB7_127
.LBB7_122:
	v_mov_b32_e32 v0, 0
	v_mov_b32_e32 v2, 0
	s_branch .LBB7_155
.LBB7_123:
	v_mov_b32_e32 v0, 0
	v_mov_b32_e32 v2, 0
	;; [unrolled: 1-line block ×3, first 2 shown]
	s_mov_b32 s31, 0
.LBB7_124:
	s_and_b32 s33, s33, 3
	s_cmp_eq_u32 s33, 0
	s_cbranch_scc1 .LBB7_127
; %bb.125:
	s_lshl_b32 s0, s31, 3
	s_mul_i32 s20, s31, 12
	s_add_u32 s0, s2, s0
	s_addc_u32 s1, s3, 0
	s_add_u32 s0, s0, 0xc4
	s_addc_u32 s1, s1, 0
	s_add_u32 s20, s2, s20
	s_addc_u32 s21, s3, 0
	.p2align	6
.LBB7_126:                              ; =>This Inner Loop Header: Depth=1
	s_clause 0x1
	s_load_dwordx2 s[34:35], s[20:21], 0x4
	s_load_dword s31, s[20:21], 0xc
	s_load_dwordx2 s[36:37], s[0:1], 0x0
	s_add_u32 s20, s20, 12
	s_addc_u32 s21, s21, 0
	s_add_u32 s0, s0, 8
	s_addc_u32 s1, s1, 0
	s_add_i32 s33, s33, -1
	s_cmp_lg_u32 s33, 0
	s_waitcnt lgkmcnt(0)
	v_mul_hi_u32 v3, s35, v1
	v_add_nc_u32_e32 v3, v1, v3
	v_lshrrev_b32_e32 v4, s31, v3
	v_mul_lo_u32 v3, v4, s34
	v_sub_nc_u32_e32 v3, v1, v3
	v_mad_u64_u32 v[0:1], null, v3, s36, v[0:1]
	v_mad_u64_u32 v[2:3], null, v3, s37, v[2:3]
	v_mov_b32_e32 v1, v4
	s_cbranch_scc1 .LBB7_126
.LBB7_127:
	s_cbranch_execnz .LBB7_130
.LBB7_128:
	s_waitcnt lgkmcnt(0)
	v_mul_hi_u32 v0, s13, v9
	s_andn2_b32 vcc_lo, exec_lo, s26
	v_add_nc_u32_e32 v0, v9, v0
	v_lshrrev_b32_e32 v1, s14, v0
	v_mul_lo_u32 v0, v1, s12
	v_sub_nc_u32_e32 v2, v9, v0
	v_mul_lo_u32 v0, v2, s8
	v_mul_lo_u32 v2, v2, s9
	s_cbranch_vccnz .LBB7_130
; %bb.129:
	v_mul_hi_u32 v3, s16, v1
	v_add_nc_u32_e32 v3, v1, v3
	v_lshrrev_b32_e32 v3, s17, v3
	v_mul_lo_u32 v3, v3, s15
	v_sub_nc_u32_e32 v3, v1, v3
	v_mad_u64_u32 v[0:1], null, v3, s10, v[0:1]
	v_mad_u64_u32 v[2:3], null, v3, s11, v[2:3]
.LBB7_130:
	s_waitcnt lgkmcnt(0)
	global_load_dwordx2 v[1:2], v2, s[6:7]
                                        ; implicit-def: $vgpr3_vgpr4
	s_waitcnt vmcnt(0)
	v_cmp_ge_f64_e64 s0, 0x40200000, |v[1:2]|
	s_and_saveexec_b32 s1, s0
	s_xor_b32 s0, exec_lo, s1
	s_cbranch_execz .LBB7_136
; %bb.131:
	v_fma_f64 v[3:4], |v[1:2]|, 0.5, -2.0
	s_mov_b32 s20, 0xc38a0576
	s_mov_b32 s21, 0xbc7857d0
	;; [unrolled: 1-line block ×4, first 2 shown]
	s_mov_b32 s1, exec_lo
	v_fma_f64 v[5:6], v[3:4], s[34:35], s[20:21]
	s_mov_b32 s35, 0xbc499f2a
	s_mov_b32 s20, 0xe593bfac
	;; [unrolled: 1-line block ×3, first 2 shown]
	v_fma_f64 v[7:8], v[3:4], v[5:6], s[34:35]
	s_mov_b32 s34, 0x3b39803f
	s_mov_b32 s35, 0xbc7abc9e
	v_add_f64 v[7:8], v[7:8], s[20:21]
	s_mov_b32 s20, 0x7e0d1573
	s_mov_b32 s21, 0xbcd3eaaa
	v_fma_f64 v[5:6], v[3:4], v[7:8], -v[5:6]
	v_add_f64 v[5:6], v[5:6], s[20:21]
	s_mov_b32 s20, 0x615290c
	s_mov_b32 s21, 0x3d011d7f
	v_fma_f64 v[7:8], v[3:4], v[5:6], -v[7:8]
	;; [unrolled: 4-line block ×20, first 2 shown]
	v_add_f64 v[7:8], v[7:8], s[20:21]
	s_mov_b32 s20, 0x652b82fe
	s_mov_b32 s21, 0x3ff71547
	v_mul_f64 v[10:11], |v[1:2]|, s[20:21]
	s_mov_b32 s20, 0x7913a26a
	s_mov_b32 s21, 0xbf85a29f
	v_fma_f64 v[5:6], v[3:4], v[7:8], -v[5:6]
	v_rndne_f64_e32 v[10:11], v[10:11]
	v_add_f64 v[5:6], v[5:6], s[20:21]
	s_mov_b32 s20, 0xfefa39ef
	s_mov_b32 s21, 0xbfe62e42
	v_fma_f64 v[12:13], v[10:11], s[20:21], |v[1:2]|
	s_mov_b32 s20, 0xe7bb2349
	s_mov_b32 s21, 0x3f9951e3
	v_fma_f64 v[7:8], v[3:4], v[5:6], -v[7:8]
	v_fma_f64 v[12:13], v[10:11], s[34:35], v[12:13]
	s_mov_b32 s34, 0x6a5dcb37
	s_mov_b32 s35, 0x3e5ade15
	v_cvt_i32_f64_e32 v10, v[10:11]
	v_add_f64 v[7:8], v[7:8], s[20:21]
	s_mov_b32 s20, 0xfca7ab0c
	s_mov_b32 s21, 0x3e928af3
	v_fma_f64 v[14:15], v[12:13], s[34:35], s[20:21]
	s_mov_b32 s20, 0x537c9ebc
	s_mov_b32 s34, 0x623fde64
	;; [unrolled: 1-line block ×4, first 2 shown]
	v_fma_f64 v[5:6], v[3:4], v[7:8], -v[5:6]
	v_fma_f64 v[14:15], v[12:13], v[14:15], s[34:35]
	s_mov_b32 s34, 0x14761f6e
	s_mov_b32 s35, 0x3f2a01a0
	v_add_f64 v[5:6], v[5:6], s[20:21]
	s_mov_b32 s20, 0x7c89e6b0
	s_mov_b32 s21, 0x3efa0199
	v_fma_f64 v[14:15], v[12:13], v[14:15], s[20:21]
	s_mov_b32 s20, 0xd536f53c
	s_mov_b32 s21, 0x3fba46da
	v_fma_f64 v[7:8], v[3:4], v[5:6], -v[7:8]
	v_fma_f64 v[14:15], v[12:13], v[14:15], s[34:35]
	s_mov_b32 s34, 0x11122322
	s_mov_b32 s35, 0x3f811111
	v_add_f64 v[7:8], v[7:8], s[20:21]
	s_mov_b32 s20, 0x1852b7b0
	s_mov_b32 s21, 0x3f56c16c
	v_fma_f64 v[14:15], v[12:13], v[14:15], s[20:21]
	s_mov_b32 s20, 0x469192e
	s_mov_b32 s21, 0xbfc694d1
	;; [unrolled: 10-line block ×3, first 2 shown]
	v_fma_f64 v[3:4], v[3:4], v[5:6], -v[7:8]
	v_fma_f64 v[5:6], v[12:13], v[14:15], s[34:35]
	v_add_f64 v[3:4], v[3:4], s[20:21]
	s_mov_b32 s20, 11
	s_mov_b32 s21, 0x3fe00000
	v_fma_f64 v[5:6], v[12:13], v[5:6], s[20:21]
	v_add_f64 v[3:4], v[3:4], -v[7:8]
	v_fma_f64 v[5:6], v[12:13], v[5:6], 1.0
	v_mul_f64 v[3:4], v[3:4], 0.5
	v_fma_f64 v[7:8], v[12:13], v[5:6], 1.0
	v_mul_f64 v[5:6], |v[1:2]|, v[3:4]
                                        ; implicit-def: $vgpr3_vgpr4
	v_cmpx_ngt_f64_e32 0, v[1:2]
	s_xor_b32 s1, exec_lo, s1
	s_cbranch_execz .LBB7_133
; %bb.132:
	v_ldexp_f64 v[3:4], v[7:8], v10
	v_cmp_nlt_f64_e64 vcc_lo, 0x40900000, |v[1:2]|
                                        ; implicit-def: $vgpr7_vgpr8
                                        ; implicit-def: $vgpr10
	v_cndmask_b32_e32 v2, 0x7ff00000, v4, vcc_lo
	v_cndmask_b32_e32 v1, 0, v3, vcc_lo
	v_mul_f64 v[3:4], v[1:2], v[5:6]
                                        ; implicit-def: $vgpr1_vgpr2
                                        ; implicit-def: $vgpr5_vgpr6
.LBB7_133:
	s_andn2_saveexec_b32 s1, s1
	s_cbranch_execz .LBB7_135
; %bb.134:
	v_ldexp_f64 v[3:4], -v[7:8], v10
	v_cmp_nlt_f64_e64 vcc_lo, 0x40900000, |v[1:2]|
	v_cndmask_b32_e32 v2, 0xfff00000, v4, vcc_lo
	v_cndmask_b32_e32 v1, 0, v3, vcc_lo
	v_mul_f64 v[3:4], v[1:2], v[5:6]
.LBB7_135:
	s_or_b32 exec_lo, exec_lo, s1
                                        ; implicit-def: $vgpr1_vgpr2
.LBB7_136:
	s_andn2_saveexec_b32 s1, s0
	s_cbranch_execz .LBB7_142
; %bb.137:
	v_and_b32_e32 v4, 0x7fffffff, v2
	v_mov_b32_e32 v3, v1
	s_mov_b32 s20, 0xea87b950
	s_mov_b32 s21, 0x3c545b8a
	;; [unrolled: 1-line block ×4, first 2 shown]
	v_div_scale_f64 v[5:6], null, v[3:4], v[3:4], 0x40400000
	v_div_scale_f64 v[3:4], vcc_lo, 0x40400000, v[3:4], 0x40400000
	v_cmp_ngt_f64_e64 s0, 0, v[1:2]
	v_rcp_f64_e32 v[7:8], v[5:6]
	v_fma_f64 v[10:11], -v[5:6], v[7:8], 1.0
	v_fma_f64 v[7:8], v[7:8], v[10:11], v[7:8]
	v_fma_f64 v[10:11], -v[5:6], v[7:8], 1.0
	v_fma_f64 v[7:8], v[7:8], v[10:11], v[7:8]
	v_mul_f64 v[10:11], v[3:4], v[7:8]
	v_fma_f64 v[3:4], -v[5:6], v[10:11], v[3:4]
	v_div_fmas_f64 v[3:4], v[3:4], v[7:8], v[10:11]
	v_cmp_nlt_f64_e64 vcc_lo, 0x40900000, |v[1:2]|
	v_div_fixup_f64 v[3:4], v[3:4], |v[1:2]|, 0x40400000
	v_add_f64 v[3:4], v[3:4], -2.0
	v_fma_f64 v[5:6], v[3:4], s[34:35], s[20:21]
	s_mov_b32 s35, 0xbc61556d
	s_mov_b32 s20, 0xb2532277
	;; [unrolled: 1-line block ×3, first 2 shown]
	v_fma_f64 v[7:8], v[3:4], v[5:6], s[34:35]
	s_mov_b32 s34, 0x6a5dcb37
	s_mov_b32 s35, 0x3e5ade15
	v_add_f64 v[7:8], v[7:8], s[20:21]
	s_mov_b32 s20, 0x9c773320
	s_mov_b32 s21, 0xbc82806c
	v_fma_f64 v[5:6], v[3:4], v[7:8], -v[5:6]
	v_add_f64 v[5:6], v[5:6], s[20:21]
	s_mov_b32 s20, 0xfceb588a
	s_mov_b32 s21, 0x3cb55915
	v_fma_f64 v[7:8], v[3:4], v[5:6], -v[7:8]
	;; [unrolled: 4-line block ×14, first 2 shown]
	v_add_f64 v[7:8], v[7:8], s[20:21]
	s_mov_b32 s20, 0x652b82fe
	s_mov_b32 s21, 0x3ff71547
	v_mul_f64 v[10:11], |v[1:2]|, s[20:21]
	s_mov_b32 s20, 0x5423dd80
	s_mov_b32 s21, 0xbe0334ca
	v_fma_f64 v[5:6], v[3:4], v[7:8], -v[5:6]
	v_rndne_f64_e32 v[10:11], v[10:11]
	v_add_f64 v[5:6], v[5:6], s[20:21]
	s_mov_b32 s20, 0xfefa39ef
	s_mov_b32 s21, 0xbfe62e42
	v_fma_f64 v[12:13], v[10:11], s[20:21], |v[1:2]|
	s_mov_b32 s20, 0x9ad53528
	s_mov_b32 s21, 0xbe30790b
	v_fma_f64 v[7:8], v[3:4], v[5:6], -v[7:8]
	v_add_f64 v[7:8], v[7:8], s[20:21]
	s_mov_b32 s20, 0x3b39803f
	s_mov_b32 s21, 0xbc7abc9e
	v_fma_f64 v[12:13], v[10:11], s[20:21], v[12:13]
	s_mov_b32 s20, 0xfca7ab0c
	s_mov_b32 s21, 0x3e928af3
	v_cvt_i32_f64_e32 v10, v[10:11]
	v_fma_f64 v[5:6], v[3:4], v[7:8], -v[5:6]
	v_fma_f64 v[14:15], v[12:13], s[34:35], s[20:21]
	s_mov_b32 s20, 0x94bb46c1
	s_mov_b32 s21, 0xbe5c4153
	v_add_f64 v[5:6], v[5:6], s[20:21]
	s_mov_b32 s20, 0x623fde64
	s_mov_b32 s21, 0x3ec71dee
	v_fma_f64 v[14:15], v[12:13], v[14:15], s[20:21]
	s_mov_b32 s20, 0x7c89e6b0
	s_mov_b32 s21, 0x3efa0199
	v_fma_f64 v[7:8], v[3:4], v[5:6], -v[7:8]
	v_fma_f64 v[14:15], v[12:13], v[14:15], s[20:21]
	s_mov_b32 s20, 0x2e9e5443
	s_mov_b32 s21, 0xbe90dbfd
	v_add_f64 v[7:8], v[7:8], s[20:21]
	s_mov_b32 s20, 0x14761f6e
	s_mov_b32 s21, 0x3f2a01a0
	v_fma_f64 v[14:15], v[12:13], v[14:15], s[20:21]
	s_mov_b32 s20, 0x1852b7b0
	s_mov_b32 s21, 0x3f56c16c
	;; [unrolled: 10-line block ×4, first 2 shown]
	v_fma_f64 v[5:6], v[3:4], v[7:8], -v[5:6]
	v_fma_f64 v[14:15], v[12:13], v[14:15], s[20:21]
	s_mov_b32 s20, 0x53fcdb4c
	s_mov_b32 s21, 0xbf83fda0
	v_add_f64 v[5:6], v[5:6], s[20:21]
	s_mov_b32 s20, 0xb55b1514
	s_mov_b32 s21, 0x3fe8ea18
	v_fma_f64 v[14:15], v[12:13], v[14:15], 1.0
	v_fma_f64 v[3:4], v[3:4], v[5:6], -v[7:8]
	v_fma_f64 v[5:6], v[12:13], v[14:15], 1.0
	v_add_f64 v[3:4], v[3:4], s[20:21]
	v_ldexp_f64 v[5:6], v[5:6], v10
	v_add_f64 v[7:8], v[3:4], -v[7:8]
                                        ; implicit-def: $vgpr3_vgpr4
	v_cndmask_b32_e32 v6, 0x7ff00000, v6, vcc_lo
	v_cndmask_b32_e32 v5, 0, v5, vcc_lo
	s_and_saveexec_b32 s20, s0
	s_xor_b32 s0, exec_lo, s20
	s_cbranch_execz .LBB7_139
; %bb.138:
	v_cmp_gt_f64_e64 s20, 0x10000000, |v[1:2]|
	v_mul_f64 v[7:8], v[7:8], 0.5
	v_cndmask_b32_e64 v3, 0, 0x100, s20
	v_mul_f64 v[5:6], v[5:6], v[7:8]
	v_ldexp_f64 v[1:2], |v[1:2]|, v3
	v_rsq_f64_e32 v[3:4], v[1:2]
	v_cmp_class_f64_e64 vcc_lo, v[1:2], 0x260
	v_mul_f64 v[10:11], v[1:2], v[3:4]
	v_mul_f64 v[3:4], v[3:4], 0.5
	v_fma_f64 v[12:13], -v[3:4], v[10:11], 0.5
	v_fma_f64 v[10:11], v[10:11], v[12:13], v[10:11]
	v_fma_f64 v[3:4], v[3:4], v[12:13], v[3:4]
	v_fma_f64 v[12:13], -v[10:11], v[10:11], v[1:2]
	v_fma_f64 v[10:11], v[12:13], v[3:4], v[10:11]
	v_fma_f64 v[12:13], -v[10:11], v[10:11], v[1:2]
	v_fma_f64 v[3:4], v[12:13], v[3:4], v[10:11]
	v_cndmask_b32_e64 v10, 0, 0xffffff80, s20
	v_ldexp_f64 v[3:4], v[3:4], v10
	v_cndmask_b32_e32 v2, v4, v2, vcc_lo
	v_cndmask_b32_e32 v1, v3, v1, vcc_lo
	v_div_scale_f64 v[3:4], null, v[1:2], v[1:2], v[5:6]
	v_rcp_f64_e32 v[7:8], v[3:4]
	v_fma_f64 v[10:11], -v[3:4], v[7:8], 1.0
	v_fma_f64 v[7:8], v[7:8], v[10:11], v[7:8]
	v_fma_f64 v[10:11], -v[3:4], v[7:8], 1.0
	v_fma_f64 v[7:8], v[7:8], v[10:11], v[7:8]
	v_div_scale_f64 v[10:11], vcc_lo, v[5:6], v[1:2], v[5:6]
	v_mul_f64 v[12:13], v[10:11], v[7:8]
	v_fma_f64 v[3:4], -v[3:4], v[12:13], v[10:11]
	v_div_fmas_f64 v[3:4], v[3:4], v[7:8], v[12:13]
                                        ; implicit-def: $vgpr7_vgpr8
	v_div_fixup_f64 v[3:4], v[3:4], v[1:2], v[5:6]
                                        ; implicit-def: $vgpr1_vgpr2
                                        ; implicit-def: $vgpr5_vgpr6
.LBB7_139:
	s_andn2_saveexec_b32 s0, s0
	s_cbranch_execz .LBB7_141
; %bb.140:
	v_cmp_gt_f64_e64 s20, 0x10000000, |v[1:2]|
	v_mul_f64 v[7:8], v[7:8], -0.5
	v_cndmask_b32_e64 v3, 0, 0x100, s20
	v_mul_f64 v[5:6], v[5:6], v[7:8]
	v_ldexp_f64 v[1:2], |v[1:2]|, v3
	v_rsq_f64_e32 v[3:4], v[1:2]
	v_cmp_class_f64_e64 vcc_lo, v[1:2], 0x260
	v_mul_f64 v[10:11], v[1:2], v[3:4]
	v_mul_f64 v[3:4], v[3:4], 0.5
	v_fma_f64 v[12:13], -v[3:4], v[10:11], 0.5
	v_fma_f64 v[10:11], v[10:11], v[12:13], v[10:11]
	v_fma_f64 v[3:4], v[3:4], v[12:13], v[3:4]
	v_fma_f64 v[12:13], -v[10:11], v[10:11], v[1:2]
	v_fma_f64 v[10:11], v[12:13], v[3:4], v[10:11]
	v_fma_f64 v[12:13], -v[10:11], v[10:11], v[1:2]
	v_fma_f64 v[3:4], v[12:13], v[3:4], v[10:11]
	v_cndmask_b32_e64 v10, 0, 0xffffff80, s20
	v_ldexp_f64 v[3:4], v[3:4], v10
	v_cndmask_b32_e32 v2, v4, v2, vcc_lo
	v_cndmask_b32_e32 v1, v3, v1, vcc_lo
	v_div_scale_f64 v[3:4], null, v[1:2], v[1:2], v[5:6]
	v_rcp_f64_e32 v[7:8], v[3:4]
	v_fma_f64 v[10:11], -v[3:4], v[7:8], 1.0
	v_fma_f64 v[7:8], v[7:8], v[10:11], v[7:8]
	v_fma_f64 v[10:11], -v[3:4], v[7:8], 1.0
	v_fma_f64 v[7:8], v[7:8], v[10:11], v[7:8]
	v_div_scale_f64 v[10:11], vcc_lo, v[5:6], v[1:2], v[5:6]
	v_mul_f64 v[12:13], v[10:11], v[7:8]
	v_fma_f64 v[3:4], -v[3:4], v[12:13], v[10:11]
	v_div_fmas_f64 v[3:4], v[3:4], v[7:8], v[12:13]
	v_div_fixup_f64 v[3:4], v[3:4], v[1:2], v[5:6]
.LBB7_141:
	s_or_b32 exec_lo, exec_lo, s0
.LBB7_142:
	s_or_b32 exec_lo, exec_lo, s1
	v_add_nc_u32_e32 v9, 0x80, v9
	global_store_dwordx2 v0, v[3:4], s[4:5]
	s_or_b32 exec_lo, exec_lo, s30
	s_mov_b32 s30, exec_lo
	v_cmpx_gt_i32_e64 s27, v9
	s_cbranch_execnz .LBB7_15
.LBB7_143:
	s_or_b32 exec_lo, exec_lo, s30
	s_mov_b32 s30, exec_lo
	v_cmpx_gt_i32_e64 s27, v9
	s_cbranch_execz .LBB7_171
.LBB7_144:
	s_andn2_b32 vcc_lo, exec_lo, s24
	s_cbranch_vccnz .LBB7_149
; %bb.145:
	s_andn2_b32 vcc_lo, exec_lo, s29
	s_cbranch_vccnz .LBB7_150
; %bb.146:
	s_add_i32 s33, s28, 1
	s_cmp_eq_u32 s23, 2
	s_cbranch_scc1 .LBB7_174
; %bb.147:
	v_mov_b32_e32 v2, 0
	v_mov_b32_e32 v0, 0
	;; [unrolled: 1-line block ×3, first 2 shown]
	s_and_b32 s31, s33, 28
	s_mov_b32 s34, 0
	s_mov_b64 s[0:1], s[2:3]
	s_mov_b64 s[20:21], s[18:19]
.LBB7_148:                              ; =>This Inner Loop Header: Depth=1
	s_clause 0x1
	s_load_dwordx8 s[36:43], s[0:1], 0x4
	s_load_dwordx4 s[52:55], s[0:1], 0x24
	s_load_dwordx8 s[44:51], s[20:21], 0x0
	s_add_u32 s0, s0, 48
	s_addc_u32 s1, s1, 0
	s_add_i32 s34, s34, 4
	s_add_u32 s20, s20, 32
	s_addc_u32 s21, s21, 0
	s_cmp_eq_u32 s31, s34
	s_waitcnt lgkmcnt(0)
	v_mul_hi_u32 v3, s37, v1
	v_add_nc_u32_e32 v3, v1, v3
	v_lshrrev_b32_e32 v3, s38, v3
	v_mul_hi_u32 v4, s40, v3
	v_mul_lo_u32 v6, v3, s36
	v_add_nc_u32_e32 v4, v3, v4
	v_sub_nc_u32_e32 v1, v1, v6
	v_lshrrev_b32_e32 v4, s41, v4
	v_mul_lo_u32 v6, v1, s44
	v_mul_lo_u32 v8, v1, s45
	v_mul_hi_u32 v5, s43, v4
	v_add_nc_u32_e32 v5, v4, v5
	v_lshrrev_b32_e32 v5, s52, v5
	v_mul_hi_u32 v7, s54, v5
	v_mul_lo_u32 v10, v5, s42
	v_add_nc_u32_e32 v1, v5, v7
	v_mul_lo_u32 v7, v4, s39
	v_sub_nc_u32_e32 v4, v4, v10
	v_lshrrev_b32_e32 v1, s55, v1
	v_mul_lo_u32 v10, v4, s48
	v_mul_lo_u32 v4, v4, s49
	v_sub_nc_u32_e32 v3, v3, v7
	v_mul_lo_u32 v11, v1, s53
	v_mul_lo_u32 v7, v3, s46
	;; [unrolled: 1-line block ×3, first 2 shown]
	v_sub_nc_u32_e32 v5, v5, v11
	v_add3_u32 v0, v6, v0, v7
	v_mul_lo_u32 v11, v5, s50
	v_mul_lo_u32 v5, v5, s51
	v_add3_u32 v2, v8, v2, v3
	v_add3_u32 v0, v10, v0, v11
	;; [unrolled: 1-line block ×3, first 2 shown]
	s_cbranch_scc0 .LBB7_148
	s_branch .LBB7_175
.LBB7_149:
                                        ; implicit-def: $vgpr0
                                        ; implicit-def: $vgpr2
	s_branch .LBB7_179
.LBB7_150:
	v_mov_b32_e32 v0, 0
	v_mov_b32_e32 v2, 0
	s_branch .LBB7_178
.LBB7_151:
	v_mov_b32_e32 v0, 0
	v_mov_b32_e32 v2, 0
	v_mov_b32_e32 v1, v9
	s_mov_b32 s31, 0
.LBB7_152:
	s_and_b32 s33, s33, 3
	s_cmp_eq_u32 s33, 0
	s_cbranch_scc1 .LBB7_155
; %bb.153:
	s_lshl_b32 s0, s31, 3
	s_mul_i32 s20, s31, 12
	s_add_u32 s0, s2, s0
	s_addc_u32 s1, s3, 0
	s_add_u32 s0, s0, 0xc4
	s_addc_u32 s1, s1, 0
	;; [unrolled: 2-line block ×3, first 2 shown]
	.p2align	6
.LBB7_154:                              ; =>This Inner Loop Header: Depth=1
	s_clause 0x1
	s_load_dwordx2 s[34:35], s[20:21], 0x4
	s_load_dword s31, s[20:21], 0xc
	s_load_dwordx2 s[36:37], s[0:1], 0x0
	s_add_u32 s20, s20, 12
	s_addc_u32 s21, s21, 0
	s_add_u32 s0, s0, 8
	s_addc_u32 s1, s1, 0
	s_add_i32 s33, s33, -1
	s_cmp_lg_u32 s33, 0
	s_waitcnt lgkmcnt(0)
	v_mul_hi_u32 v3, s35, v1
	v_add_nc_u32_e32 v3, v1, v3
	v_lshrrev_b32_e32 v4, s31, v3
	v_mul_lo_u32 v3, v4, s34
	v_sub_nc_u32_e32 v3, v1, v3
	v_mad_u64_u32 v[0:1], null, v3, s36, v[0:1]
	v_mad_u64_u32 v[2:3], null, v3, s37, v[2:3]
	v_mov_b32_e32 v1, v4
	s_cbranch_scc1 .LBB7_154
.LBB7_155:
	s_cbranch_execnz .LBB7_158
.LBB7_156:
	s_waitcnt lgkmcnt(0)
	v_mul_hi_u32 v0, s13, v9
	s_andn2_b32 vcc_lo, exec_lo, s26
	v_add_nc_u32_e32 v0, v9, v0
	v_lshrrev_b32_e32 v1, s14, v0
	v_mul_lo_u32 v0, v1, s12
	v_sub_nc_u32_e32 v2, v9, v0
	v_mul_lo_u32 v0, v2, s8
	v_mul_lo_u32 v2, v2, s9
	s_cbranch_vccnz .LBB7_158
; %bb.157:
	v_mul_hi_u32 v3, s16, v1
	v_add_nc_u32_e32 v3, v1, v3
	v_lshrrev_b32_e32 v3, s17, v3
	v_mul_lo_u32 v3, v3, s15
	v_sub_nc_u32_e32 v3, v1, v3
	v_mad_u64_u32 v[0:1], null, v3, s10, v[0:1]
	v_mad_u64_u32 v[2:3], null, v3, s11, v[2:3]
.LBB7_158:
	s_waitcnt lgkmcnt(0)
	global_load_dwordx2 v[1:2], v2, s[6:7]
                                        ; implicit-def: $vgpr3_vgpr4
	s_waitcnt vmcnt(0)
	v_cmp_ge_f64_e64 s0, 0x40200000, |v[1:2]|
	s_and_saveexec_b32 s1, s0
	s_xor_b32 s0, exec_lo, s1
	s_cbranch_execz .LBB7_164
; %bb.159:
	v_fma_f64 v[3:4], |v[1:2]|, 0.5, -2.0
	s_mov_b32 s20, 0xc38a0576
	s_mov_b32 s21, 0xbc7857d0
	;; [unrolled: 1-line block ×4, first 2 shown]
	s_mov_b32 s1, exec_lo
	v_fma_f64 v[5:6], v[3:4], s[34:35], s[20:21]
	s_mov_b32 s35, 0xbc499f2a
	s_mov_b32 s20, 0xe593bfac
	;; [unrolled: 1-line block ×3, first 2 shown]
	v_fma_f64 v[7:8], v[3:4], v[5:6], s[34:35]
	s_mov_b32 s34, 0x3b39803f
	s_mov_b32 s35, 0xbc7abc9e
	v_add_f64 v[7:8], v[7:8], s[20:21]
	s_mov_b32 s20, 0x7e0d1573
	s_mov_b32 s21, 0xbcd3eaaa
	v_fma_f64 v[5:6], v[3:4], v[7:8], -v[5:6]
	v_add_f64 v[5:6], v[5:6], s[20:21]
	s_mov_b32 s20, 0x615290c
	s_mov_b32 s21, 0x3d011d7f
	v_fma_f64 v[7:8], v[3:4], v[5:6], -v[7:8]
	;; [unrolled: 4-line block ×20, first 2 shown]
	v_add_f64 v[7:8], v[7:8], s[20:21]
	s_mov_b32 s20, 0x652b82fe
	s_mov_b32 s21, 0x3ff71547
	v_mul_f64 v[10:11], |v[1:2]|, s[20:21]
	s_mov_b32 s20, 0x7913a26a
	s_mov_b32 s21, 0xbf85a29f
	v_fma_f64 v[5:6], v[3:4], v[7:8], -v[5:6]
	v_rndne_f64_e32 v[10:11], v[10:11]
	v_add_f64 v[5:6], v[5:6], s[20:21]
	s_mov_b32 s20, 0xfefa39ef
	s_mov_b32 s21, 0xbfe62e42
	v_fma_f64 v[12:13], v[10:11], s[20:21], |v[1:2]|
	s_mov_b32 s20, 0xe7bb2349
	s_mov_b32 s21, 0x3f9951e3
	v_fma_f64 v[7:8], v[3:4], v[5:6], -v[7:8]
	v_fma_f64 v[12:13], v[10:11], s[34:35], v[12:13]
	s_mov_b32 s34, 0x6a5dcb37
	s_mov_b32 s35, 0x3e5ade15
	v_cvt_i32_f64_e32 v10, v[10:11]
	v_add_f64 v[7:8], v[7:8], s[20:21]
	s_mov_b32 s20, 0xfca7ab0c
	s_mov_b32 s21, 0x3e928af3
	v_fma_f64 v[14:15], v[12:13], s[34:35], s[20:21]
	s_mov_b32 s20, 0x537c9ebc
	s_mov_b32 s34, 0x623fde64
	;; [unrolled: 1-line block ×4, first 2 shown]
	v_fma_f64 v[5:6], v[3:4], v[7:8], -v[5:6]
	v_fma_f64 v[14:15], v[12:13], v[14:15], s[34:35]
	s_mov_b32 s34, 0x14761f6e
	s_mov_b32 s35, 0x3f2a01a0
	v_add_f64 v[5:6], v[5:6], s[20:21]
	s_mov_b32 s20, 0x7c89e6b0
	s_mov_b32 s21, 0x3efa0199
	v_fma_f64 v[14:15], v[12:13], v[14:15], s[20:21]
	s_mov_b32 s20, 0xd536f53c
	s_mov_b32 s21, 0x3fba46da
	v_fma_f64 v[7:8], v[3:4], v[5:6], -v[7:8]
	v_fma_f64 v[14:15], v[12:13], v[14:15], s[34:35]
	s_mov_b32 s34, 0x11122322
	s_mov_b32 s35, 0x3f811111
	v_add_f64 v[7:8], v[7:8], s[20:21]
	s_mov_b32 s20, 0x1852b7b0
	s_mov_b32 s21, 0x3f56c16c
	v_fma_f64 v[14:15], v[12:13], v[14:15], s[20:21]
	s_mov_b32 s20, 0x469192e
	s_mov_b32 s21, 0xbfc694d1
	;; [unrolled: 10-line block ×3, first 2 shown]
	v_fma_f64 v[3:4], v[3:4], v[5:6], -v[7:8]
	v_fma_f64 v[5:6], v[12:13], v[14:15], s[34:35]
	v_add_f64 v[3:4], v[3:4], s[20:21]
	s_mov_b32 s20, 11
	s_mov_b32 s21, 0x3fe00000
	v_fma_f64 v[5:6], v[12:13], v[5:6], s[20:21]
	v_add_f64 v[3:4], v[3:4], -v[7:8]
	v_fma_f64 v[5:6], v[12:13], v[5:6], 1.0
	v_mul_f64 v[3:4], v[3:4], 0.5
	v_fma_f64 v[7:8], v[12:13], v[5:6], 1.0
	v_mul_f64 v[5:6], |v[1:2]|, v[3:4]
                                        ; implicit-def: $vgpr3_vgpr4
	v_cmpx_ngt_f64_e32 0, v[1:2]
	s_xor_b32 s1, exec_lo, s1
	s_cbranch_execz .LBB7_161
; %bb.160:
	v_ldexp_f64 v[3:4], v[7:8], v10
	v_cmp_nlt_f64_e64 vcc_lo, 0x40900000, |v[1:2]|
                                        ; implicit-def: $vgpr7_vgpr8
                                        ; implicit-def: $vgpr10
	v_cndmask_b32_e32 v2, 0x7ff00000, v4, vcc_lo
	v_cndmask_b32_e32 v1, 0, v3, vcc_lo
	v_mul_f64 v[3:4], v[1:2], v[5:6]
                                        ; implicit-def: $vgpr1_vgpr2
                                        ; implicit-def: $vgpr5_vgpr6
.LBB7_161:
	s_andn2_saveexec_b32 s1, s1
	s_cbranch_execz .LBB7_163
; %bb.162:
	v_ldexp_f64 v[3:4], -v[7:8], v10
	v_cmp_nlt_f64_e64 vcc_lo, 0x40900000, |v[1:2]|
	v_cndmask_b32_e32 v2, 0xfff00000, v4, vcc_lo
	v_cndmask_b32_e32 v1, 0, v3, vcc_lo
	v_mul_f64 v[3:4], v[1:2], v[5:6]
.LBB7_163:
	s_or_b32 exec_lo, exec_lo, s1
                                        ; implicit-def: $vgpr1_vgpr2
.LBB7_164:
	s_andn2_saveexec_b32 s1, s0
	s_cbranch_execz .LBB7_170
; %bb.165:
	v_and_b32_e32 v4, 0x7fffffff, v2
	v_mov_b32_e32 v3, v1
	s_mov_b32 s20, 0xea87b950
	s_mov_b32 s21, 0x3c545b8a
	;; [unrolled: 1-line block ×4, first 2 shown]
	v_div_scale_f64 v[5:6], null, v[3:4], v[3:4], 0x40400000
	v_div_scale_f64 v[3:4], vcc_lo, 0x40400000, v[3:4], 0x40400000
	v_cmp_ngt_f64_e64 s0, 0, v[1:2]
	v_rcp_f64_e32 v[7:8], v[5:6]
	v_fma_f64 v[10:11], -v[5:6], v[7:8], 1.0
	v_fma_f64 v[7:8], v[7:8], v[10:11], v[7:8]
	v_fma_f64 v[10:11], -v[5:6], v[7:8], 1.0
	v_fma_f64 v[7:8], v[7:8], v[10:11], v[7:8]
	v_mul_f64 v[10:11], v[3:4], v[7:8]
	v_fma_f64 v[3:4], -v[5:6], v[10:11], v[3:4]
	v_div_fmas_f64 v[3:4], v[3:4], v[7:8], v[10:11]
	v_cmp_nlt_f64_e64 vcc_lo, 0x40900000, |v[1:2]|
	v_div_fixup_f64 v[3:4], v[3:4], |v[1:2]|, 0x40400000
	v_add_f64 v[3:4], v[3:4], -2.0
	v_fma_f64 v[5:6], v[3:4], s[34:35], s[20:21]
	s_mov_b32 s35, 0xbc61556d
	s_mov_b32 s20, 0xb2532277
	;; [unrolled: 1-line block ×3, first 2 shown]
	v_fma_f64 v[7:8], v[3:4], v[5:6], s[34:35]
	s_mov_b32 s34, 0x6a5dcb37
	s_mov_b32 s35, 0x3e5ade15
	v_add_f64 v[7:8], v[7:8], s[20:21]
	s_mov_b32 s20, 0x9c773320
	s_mov_b32 s21, 0xbc82806c
	v_fma_f64 v[5:6], v[3:4], v[7:8], -v[5:6]
	v_add_f64 v[5:6], v[5:6], s[20:21]
	s_mov_b32 s20, 0xfceb588a
	s_mov_b32 s21, 0x3cb55915
	v_fma_f64 v[7:8], v[3:4], v[5:6], -v[7:8]
	v_add_f64 v[7:8], v[7:8], s[20:21]
	s_mov_b32 s20, 0x5f04a2d1
	s_mov_b32 s21, 0x3cb7d68e
	v_fma_f64 v[5:6], v[3:4], v[7:8], -v[5:6]
	v_add_f64 v[5:6], v[5:6], s[20:21]
	s_mov_b32 s20, 0x8bc4d22a
	s_mov_b32 s21, 0xbce0efcd
	v_fma_f64 v[7:8], v[3:4], v[5:6], -v[7:8]
	v_add_f64 v[7:8], v[7:8], s[20:21]
	s_mov_b32 s20, 0x138afbc7
	s_mov_b32 s21, 0xbcf12db5
	v_fma_f64 v[5:6], v[3:4], v[7:8], -v[5:6]
	v_add_f64 v[5:6], v[5:6], s[20:21]
	s_mov_b32 s20, 0x762d31e8
	s_mov_b32 s21, 0x3d0776e1
	v_fma_f64 v[7:8], v[3:4], v[5:6], -v[7:8]
	v_add_f64 v[7:8], v[7:8], s[20:21]
	s_mov_b32 s20, 0x26b3281e
	s_mov_b32 s21, 0x3d280d3c
	v_fma_f64 v[5:6], v[3:4], v[7:8], -v[5:6]
	v_add_f64 v[5:6], v[5:6], s[20:21]
	s_mov_b32 s20, 0x2e6d22a0
	s_mov_b32 s21, 0xbd17a948
	v_fma_f64 v[7:8], v[3:4], v[5:6], -v[7:8]
	v_add_f64 v[7:8], v[7:8], s[20:21]
	s_mov_b32 s20, 0x8e73e255
	s_mov_b32 s21, 0xbd5cbc45
	v_fma_f64 v[5:6], v[3:4], v[7:8], -v[5:6]
	v_add_f64 v[5:6], v[5:6], s[20:21]
	s_mov_b32 s20, 0x76ab493
	s_mov_b32 s21, 0xbd6953e1
	v_fma_f64 v[7:8], v[3:4], v[5:6], -v[7:8]
	v_add_f64 v[7:8], v[7:8], s[20:21]
	s_mov_b32 s20, 0xf6439fa3
	s_mov_b32 s21, 0x3d81e7d3
	v_fma_f64 v[5:6], v[3:4], v[7:8], -v[5:6]
	v_add_f64 v[5:6], v[5:6], s[20:21]
	s_mov_b32 s20, 0x653c457b
	s_mov_b32 s21, 0x3daf101f
	v_fma_f64 v[7:8], v[3:4], v[5:6], -v[7:8]
	v_add_f64 v[7:8], v[7:8], s[20:21]
	s_mov_b32 s20, 0xf1587865
	s_mov_b32 s21, 0x3dc1e1a1
	v_fma_f64 v[5:6], v[3:4], v[7:8], -v[5:6]
	v_add_f64 v[5:6], v[5:6], s[20:21]
	s_mov_b32 s20, 0xd4504c0c
	s_mov_b32 s21, 0xbdb4dcf9
	v_fma_f64 v[7:8], v[3:4], v[5:6], -v[7:8]
	v_add_f64 v[7:8], v[7:8], s[20:21]
	s_mov_b32 s20, 0x652b82fe
	s_mov_b32 s21, 0x3ff71547
	v_mul_f64 v[10:11], |v[1:2]|, s[20:21]
	s_mov_b32 s20, 0x5423dd80
	s_mov_b32 s21, 0xbe0334ca
	v_fma_f64 v[5:6], v[3:4], v[7:8], -v[5:6]
	v_rndne_f64_e32 v[10:11], v[10:11]
	v_add_f64 v[5:6], v[5:6], s[20:21]
	s_mov_b32 s20, 0xfefa39ef
	s_mov_b32 s21, 0xbfe62e42
	v_fma_f64 v[12:13], v[10:11], s[20:21], |v[1:2]|
	s_mov_b32 s20, 0x9ad53528
	s_mov_b32 s21, 0xbe30790b
	v_fma_f64 v[7:8], v[3:4], v[5:6], -v[7:8]
	v_add_f64 v[7:8], v[7:8], s[20:21]
	s_mov_b32 s20, 0x3b39803f
	s_mov_b32 s21, 0xbc7abc9e
	v_fma_f64 v[12:13], v[10:11], s[20:21], v[12:13]
	s_mov_b32 s20, 0xfca7ab0c
	s_mov_b32 s21, 0x3e928af3
	v_cvt_i32_f64_e32 v10, v[10:11]
	v_fma_f64 v[5:6], v[3:4], v[7:8], -v[5:6]
	v_fma_f64 v[14:15], v[12:13], s[34:35], s[20:21]
	s_mov_b32 s20, 0x94bb46c1
	s_mov_b32 s21, 0xbe5c4153
	v_add_f64 v[5:6], v[5:6], s[20:21]
	s_mov_b32 s20, 0x623fde64
	s_mov_b32 s21, 0x3ec71dee
	v_fma_f64 v[14:15], v[12:13], v[14:15], s[20:21]
	s_mov_b32 s20, 0x7c89e6b0
	s_mov_b32 s21, 0x3efa0199
	v_fma_f64 v[7:8], v[3:4], v[5:6], -v[7:8]
	v_fma_f64 v[14:15], v[12:13], v[14:15], s[20:21]
	s_mov_b32 s20, 0x2e9e5443
	s_mov_b32 s21, 0xbe90dbfd
	v_add_f64 v[7:8], v[7:8], s[20:21]
	s_mov_b32 s20, 0x14761f6e
	s_mov_b32 s21, 0x3f2a01a0
	v_fma_f64 v[14:15], v[12:13], v[14:15], s[20:21]
	s_mov_b32 s20, 0x1852b7b0
	s_mov_b32 s21, 0x3f56c16c
	;; [unrolled: 10-line block ×4, first 2 shown]
	v_fma_f64 v[5:6], v[3:4], v[7:8], -v[5:6]
	v_fma_f64 v[14:15], v[12:13], v[14:15], s[20:21]
	s_mov_b32 s20, 0x53fcdb4c
	s_mov_b32 s21, 0xbf83fda0
	v_add_f64 v[5:6], v[5:6], s[20:21]
	s_mov_b32 s20, 0xb55b1514
	s_mov_b32 s21, 0x3fe8ea18
	v_fma_f64 v[14:15], v[12:13], v[14:15], 1.0
	v_fma_f64 v[3:4], v[3:4], v[5:6], -v[7:8]
	v_fma_f64 v[5:6], v[12:13], v[14:15], 1.0
	v_add_f64 v[3:4], v[3:4], s[20:21]
	v_ldexp_f64 v[5:6], v[5:6], v10
	v_add_f64 v[7:8], v[3:4], -v[7:8]
                                        ; implicit-def: $vgpr3_vgpr4
	v_cndmask_b32_e32 v6, 0x7ff00000, v6, vcc_lo
	v_cndmask_b32_e32 v5, 0, v5, vcc_lo
	s_and_saveexec_b32 s20, s0
	s_xor_b32 s0, exec_lo, s20
	s_cbranch_execz .LBB7_167
; %bb.166:
	v_cmp_gt_f64_e64 s20, 0x10000000, |v[1:2]|
	v_mul_f64 v[7:8], v[7:8], 0.5
	v_cndmask_b32_e64 v3, 0, 0x100, s20
	v_mul_f64 v[5:6], v[5:6], v[7:8]
	v_ldexp_f64 v[1:2], |v[1:2]|, v3
	v_rsq_f64_e32 v[3:4], v[1:2]
	v_cmp_class_f64_e64 vcc_lo, v[1:2], 0x260
	v_mul_f64 v[10:11], v[1:2], v[3:4]
	v_mul_f64 v[3:4], v[3:4], 0.5
	v_fma_f64 v[12:13], -v[3:4], v[10:11], 0.5
	v_fma_f64 v[10:11], v[10:11], v[12:13], v[10:11]
	v_fma_f64 v[3:4], v[3:4], v[12:13], v[3:4]
	v_fma_f64 v[12:13], -v[10:11], v[10:11], v[1:2]
	v_fma_f64 v[10:11], v[12:13], v[3:4], v[10:11]
	v_fma_f64 v[12:13], -v[10:11], v[10:11], v[1:2]
	v_fma_f64 v[3:4], v[12:13], v[3:4], v[10:11]
	v_cndmask_b32_e64 v10, 0, 0xffffff80, s20
	v_ldexp_f64 v[3:4], v[3:4], v10
	v_cndmask_b32_e32 v2, v4, v2, vcc_lo
	v_cndmask_b32_e32 v1, v3, v1, vcc_lo
	v_div_scale_f64 v[3:4], null, v[1:2], v[1:2], v[5:6]
	v_rcp_f64_e32 v[7:8], v[3:4]
	v_fma_f64 v[10:11], -v[3:4], v[7:8], 1.0
	v_fma_f64 v[7:8], v[7:8], v[10:11], v[7:8]
	v_fma_f64 v[10:11], -v[3:4], v[7:8], 1.0
	v_fma_f64 v[7:8], v[7:8], v[10:11], v[7:8]
	v_div_scale_f64 v[10:11], vcc_lo, v[5:6], v[1:2], v[5:6]
	v_mul_f64 v[12:13], v[10:11], v[7:8]
	v_fma_f64 v[3:4], -v[3:4], v[12:13], v[10:11]
	v_div_fmas_f64 v[3:4], v[3:4], v[7:8], v[12:13]
                                        ; implicit-def: $vgpr7_vgpr8
	v_div_fixup_f64 v[3:4], v[3:4], v[1:2], v[5:6]
                                        ; implicit-def: $vgpr1_vgpr2
                                        ; implicit-def: $vgpr5_vgpr6
.LBB7_167:
	s_andn2_saveexec_b32 s0, s0
	s_cbranch_execz .LBB7_169
; %bb.168:
	v_cmp_gt_f64_e64 s20, 0x10000000, |v[1:2]|
	v_mul_f64 v[7:8], v[7:8], -0.5
	v_cndmask_b32_e64 v3, 0, 0x100, s20
	v_mul_f64 v[5:6], v[5:6], v[7:8]
	v_ldexp_f64 v[1:2], |v[1:2]|, v3
	v_rsq_f64_e32 v[3:4], v[1:2]
	v_cmp_class_f64_e64 vcc_lo, v[1:2], 0x260
	v_mul_f64 v[10:11], v[1:2], v[3:4]
	v_mul_f64 v[3:4], v[3:4], 0.5
	v_fma_f64 v[12:13], -v[3:4], v[10:11], 0.5
	v_fma_f64 v[10:11], v[10:11], v[12:13], v[10:11]
	v_fma_f64 v[3:4], v[3:4], v[12:13], v[3:4]
	v_fma_f64 v[12:13], -v[10:11], v[10:11], v[1:2]
	v_fma_f64 v[10:11], v[12:13], v[3:4], v[10:11]
	v_fma_f64 v[12:13], -v[10:11], v[10:11], v[1:2]
	v_fma_f64 v[3:4], v[12:13], v[3:4], v[10:11]
	v_cndmask_b32_e64 v10, 0, 0xffffff80, s20
	v_ldexp_f64 v[3:4], v[3:4], v10
	v_cndmask_b32_e32 v2, v4, v2, vcc_lo
	v_cndmask_b32_e32 v1, v3, v1, vcc_lo
	v_div_scale_f64 v[3:4], null, v[1:2], v[1:2], v[5:6]
	v_rcp_f64_e32 v[7:8], v[3:4]
	v_fma_f64 v[10:11], -v[3:4], v[7:8], 1.0
	v_fma_f64 v[7:8], v[7:8], v[10:11], v[7:8]
	v_fma_f64 v[10:11], -v[3:4], v[7:8], 1.0
	v_fma_f64 v[7:8], v[7:8], v[10:11], v[7:8]
	v_div_scale_f64 v[10:11], vcc_lo, v[5:6], v[1:2], v[5:6]
	v_mul_f64 v[12:13], v[10:11], v[7:8]
	v_fma_f64 v[3:4], -v[3:4], v[12:13], v[10:11]
	v_div_fmas_f64 v[3:4], v[3:4], v[7:8], v[12:13]
	v_div_fixup_f64 v[3:4], v[3:4], v[1:2], v[5:6]
.LBB7_169:
	s_or_b32 exec_lo, exec_lo, s0
.LBB7_170:
	s_or_b32 exec_lo, exec_lo, s1
	v_add_nc_u32_e32 v9, 0x80, v9
	global_store_dwordx2 v0, v[3:4], s[4:5]
	s_or_b32 exec_lo, exec_lo, s30
	s_mov_b32 s30, exec_lo
	v_cmpx_gt_i32_e64 s27, v9
	s_cbranch_execnz .LBB7_144
.LBB7_171:
	s_or_b32 exec_lo, exec_lo, s30
	s_mov_b32 s20, exec_lo
	v_cmpx_gt_i32_e64 s27, v9
	s_cbranch_execnz .LBB7_194
.LBB7_172:
	s_or_b32 exec_lo, exec_lo, s20
                                        ; implicit-def: $vgpr12
                                        ; implicit-def: $vgpr9
	s_andn2_saveexec_b32 s0, s25
	s_cbranch_execnz .LBB7_8
.LBB7_173:
	s_endpgm
.LBB7_174:
	v_mov_b32_e32 v0, 0
	v_mov_b32_e32 v2, 0
	;; [unrolled: 1-line block ×3, first 2 shown]
	s_mov_b32 s31, 0
.LBB7_175:
	s_and_b32 s33, s33, 3
	s_cmp_eq_u32 s33, 0
	s_cbranch_scc1 .LBB7_178
; %bb.176:
	s_lshl_b32 s0, s31, 3
	s_mul_i32 s20, s31, 12
	s_add_u32 s0, s2, s0
	s_addc_u32 s1, s3, 0
	s_add_u32 s0, s0, 0xc4
	s_addc_u32 s1, s1, 0
	;; [unrolled: 2-line block ×3, first 2 shown]
	.p2align	6
.LBB7_177:                              ; =>This Inner Loop Header: Depth=1
	s_clause 0x1
	s_load_dwordx2 s[34:35], s[20:21], 0x4
	s_load_dword s31, s[20:21], 0xc
	s_load_dwordx2 s[36:37], s[0:1], 0x0
	s_add_u32 s20, s20, 12
	s_addc_u32 s21, s21, 0
	s_add_u32 s0, s0, 8
	s_addc_u32 s1, s1, 0
	s_add_i32 s33, s33, -1
	s_cmp_lg_u32 s33, 0
	s_waitcnt lgkmcnt(0)
	v_mul_hi_u32 v3, s35, v1
	v_add_nc_u32_e32 v3, v1, v3
	v_lshrrev_b32_e32 v4, s31, v3
	v_mul_lo_u32 v3, v4, s34
	v_sub_nc_u32_e32 v3, v1, v3
	v_mad_u64_u32 v[0:1], null, v3, s36, v[0:1]
	v_mad_u64_u32 v[2:3], null, v3, s37, v[2:3]
	v_mov_b32_e32 v1, v4
	s_cbranch_scc1 .LBB7_177
.LBB7_178:
	s_cbranch_execnz .LBB7_181
.LBB7_179:
	s_waitcnt lgkmcnt(0)
	v_mul_hi_u32 v0, s13, v9
	s_andn2_b32 vcc_lo, exec_lo, s26
	v_add_nc_u32_e32 v0, v9, v0
	v_lshrrev_b32_e32 v1, s14, v0
	v_mul_lo_u32 v0, v1, s12
	v_sub_nc_u32_e32 v2, v9, v0
	v_mul_lo_u32 v0, v2, s8
	v_mul_lo_u32 v2, v2, s9
	s_cbranch_vccnz .LBB7_181
; %bb.180:
	v_mul_hi_u32 v3, s16, v1
	v_add_nc_u32_e32 v3, v1, v3
	v_lshrrev_b32_e32 v3, s17, v3
	v_mul_lo_u32 v3, v3, s15
	v_sub_nc_u32_e32 v3, v1, v3
	v_mad_u64_u32 v[0:1], null, v3, s10, v[0:1]
	v_mad_u64_u32 v[2:3], null, v3, s11, v[2:3]
.LBB7_181:
	s_waitcnt lgkmcnt(0)
	global_load_dwordx2 v[1:2], v2, s[6:7]
                                        ; implicit-def: $vgpr3_vgpr4
	s_waitcnt vmcnt(0)
	v_cmp_ge_f64_e64 s0, 0x40200000, |v[1:2]|
	s_and_saveexec_b32 s1, s0
	s_xor_b32 s0, exec_lo, s1
	s_cbranch_execz .LBB7_187
; %bb.182:
	v_fma_f64 v[3:4], |v[1:2]|, 0.5, -2.0
	s_mov_b32 s20, 0xc38a0576
	s_mov_b32 s21, 0xbc7857d0
	;; [unrolled: 1-line block ×4, first 2 shown]
	s_mov_b32 s1, exec_lo
	v_fma_f64 v[5:6], v[3:4], s[34:35], s[20:21]
	s_mov_b32 s35, 0xbc499f2a
	s_mov_b32 s20, 0xe593bfac
	;; [unrolled: 1-line block ×3, first 2 shown]
	v_fma_f64 v[7:8], v[3:4], v[5:6], s[34:35]
	s_mov_b32 s34, 0x3b39803f
	s_mov_b32 s35, 0xbc7abc9e
	v_add_f64 v[7:8], v[7:8], s[20:21]
	s_mov_b32 s20, 0x7e0d1573
	s_mov_b32 s21, 0xbcd3eaaa
	v_fma_f64 v[5:6], v[3:4], v[7:8], -v[5:6]
	v_add_f64 v[5:6], v[5:6], s[20:21]
	s_mov_b32 s20, 0x615290c
	s_mov_b32 s21, 0x3d011d7f
	v_fma_f64 v[7:8], v[3:4], v[5:6], -v[7:8]
	;; [unrolled: 4-line block ×20, first 2 shown]
	v_add_f64 v[7:8], v[7:8], s[20:21]
	s_mov_b32 s20, 0x652b82fe
	s_mov_b32 s21, 0x3ff71547
	v_mul_f64 v[10:11], |v[1:2]|, s[20:21]
	s_mov_b32 s20, 0x7913a26a
	s_mov_b32 s21, 0xbf85a29f
	v_fma_f64 v[5:6], v[3:4], v[7:8], -v[5:6]
	v_rndne_f64_e32 v[10:11], v[10:11]
	v_add_f64 v[5:6], v[5:6], s[20:21]
	s_mov_b32 s20, 0xfefa39ef
	s_mov_b32 s21, 0xbfe62e42
	v_fma_f64 v[12:13], v[10:11], s[20:21], |v[1:2]|
	s_mov_b32 s20, 0xe7bb2349
	s_mov_b32 s21, 0x3f9951e3
	v_fma_f64 v[7:8], v[3:4], v[5:6], -v[7:8]
	v_fma_f64 v[12:13], v[10:11], s[34:35], v[12:13]
	s_mov_b32 s34, 0x6a5dcb37
	s_mov_b32 s35, 0x3e5ade15
	v_cvt_i32_f64_e32 v10, v[10:11]
	v_add_f64 v[7:8], v[7:8], s[20:21]
	s_mov_b32 s20, 0xfca7ab0c
	s_mov_b32 s21, 0x3e928af3
	v_fma_f64 v[14:15], v[12:13], s[34:35], s[20:21]
	s_mov_b32 s20, 0x537c9ebc
	s_mov_b32 s34, 0x623fde64
	s_mov_b32 s21, 0xbfab1bbc
	s_mov_b32 s35, 0x3ec71dee
	v_fma_f64 v[5:6], v[3:4], v[7:8], -v[5:6]
	v_fma_f64 v[14:15], v[12:13], v[14:15], s[34:35]
	s_mov_b32 s34, 0x14761f6e
	s_mov_b32 s35, 0x3f2a01a0
	v_add_f64 v[5:6], v[5:6], s[20:21]
	s_mov_b32 s20, 0x7c89e6b0
	s_mov_b32 s21, 0x3efa0199
	v_fma_f64 v[14:15], v[12:13], v[14:15], s[20:21]
	s_mov_b32 s20, 0xd536f53c
	s_mov_b32 s21, 0x3fba46da
	v_fma_f64 v[7:8], v[3:4], v[5:6], -v[7:8]
	v_fma_f64 v[14:15], v[12:13], v[14:15], s[34:35]
	s_mov_b32 s34, 0x11122322
	s_mov_b32 s35, 0x3f811111
	v_add_f64 v[7:8], v[7:8], s[20:21]
	s_mov_b32 s20, 0x1852b7b0
	s_mov_b32 s21, 0x3f56c16c
	v_fma_f64 v[14:15], v[12:13], v[14:15], s[20:21]
	s_mov_b32 s20, 0x469192e
	s_mov_b32 s21, 0xbfc694d1
	;; [unrolled: 10-line block ×3, first 2 shown]
	v_fma_f64 v[3:4], v[3:4], v[5:6], -v[7:8]
	v_fma_f64 v[5:6], v[12:13], v[14:15], s[34:35]
	v_add_f64 v[3:4], v[3:4], s[20:21]
	s_mov_b32 s20, 11
	s_mov_b32 s21, 0x3fe00000
	v_fma_f64 v[5:6], v[12:13], v[5:6], s[20:21]
	v_add_f64 v[3:4], v[3:4], -v[7:8]
	v_fma_f64 v[5:6], v[12:13], v[5:6], 1.0
	v_mul_f64 v[3:4], v[3:4], 0.5
	v_fma_f64 v[7:8], v[12:13], v[5:6], 1.0
	v_mul_f64 v[5:6], |v[1:2]|, v[3:4]
                                        ; implicit-def: $vgpr3_vgpr4
	v_cmpx_ngt_f64_e32 0, v[1:2]
	s_xor_b32 s1, exec_lo, s1
	s_cbranch_execz .LBB7_184
; %bb.183:
	v_ldexp_f64 v[3:4], v[7:8], v10
	v_cmp_nlt_f64_e64 vcc_lo, 0x40900000, |v[1:2]|
                                        ; implicit-def: $vgpr7_vgpr8
                                        ; implicit-def: $vgpr10
	v_cndmask_b32_e32 v2, 0x7ff00000, v4, vcc_lo
	v_cndmask_b32_e32 v1, 0, v3, vcc_lo
	v_mul_f64 v[3:4], v[1:2], v[5:6]
                                        ; implicit-def: $vgpr1_vgpr2
                                        ; implicit-def: $vgpr5_vgpr6
.LBB7_184:
	s_andn2_saveexec_b32 s1, s1
	s_cbranch_execz .LBB7_186
; %bb.185:
	v_ldexp_f64 v[3:4], -v[7:8], v10
	v_cmp_nlt_f64_e64 vcc_lo, 0x40900000, |v[1:2]|
	v_cndmask_b32_e32 v2, 0xfff00000, v4, vcc_lo
	v_cndmask_b32_e32 v1, 0, v3, vcc_lo
	v_mul_f64 v[3:4], v[1:2], v[5:6]
.LBB7_186:
	s_or_b32 exec_lo, exec_lo, s1
                                        ; implicit-def: $vgpr1_vgpr2
.LBB7_187:
	s_andn2_saveexec_b32 s1, s0
	s_cbranch_execz .LBB7_193
; %bb.188:
	v_and_b32_e32 v4, 0x7fffffff, v2
	v_mov_b32_e32 v3, v1
	s_mov_b32 s20, 0xea87b950
	s_mov_b32 s21, 0x3c545b8a
	;; [unrolled: 1-line block ×4, first 2 shown]
	v_div_scale_f64 v[5:6], null, v[3:4], v[3:4], 0x40400000
	v_div_scale_f64 v[3:4], vcc_lo, 0x40400000, v[3:4], 0x40400000
	v_cmp_ngt_f64_e64 s0, 0, v[1:2]
	v_rcp_f64_e32 v[7:8], v[5:6]
	v_fma_f64 v[10:11], -v[5:6], v[7:8], 1.0
	v_fma_f64 v[7:8], v[7:8], v[10:11], v[7:8]
	v_fma_f64 v[10:11], -v[5:6], v[7:8], 1.0
	v_fma_f64 v[7:8], v[7:8], v[10:11], v[7:8]
	v_mul_f64 v[10:11], v[3:4], v[7:8]
	v_fma_f64 v[3:4], -v[5:6], v[10:11], v[3:4]
	v_div_fmas_f64 v[3:4], v[3:4], v[7:8], v[10:11]
	v_cmp_nlt_f64_e64 vcc_lo, 0x40900000, |v[1:2]|
	v_div_fixup_f64 v[3:4], v[3:4], |v[1:2]|, 0x40400000
	v_add_f64 v[3:4], v[3:4], -2.0
	v_fma_f64 v[5:6], v[3:4], s[34:35], s[20:21]
	s_mov_b32 s35, 0xbc61556d
	s_mov_b32 s20, 0xb2532277
	;; [unrolled: 1-line block ×3, first 2 shown]
	v_fma_f64 v[7:8], v[3:4], v[5:6], s[34:35]
	s_mov_b32 s34, 0x6a5dcb37
	s_mov_b32 s35, 0x3e5ade15
	v_add_f64 v[7:8], v[7:8], s[20:21]
	s_mov_b32 s20, 0x9c773320
	s_mov_b32 s21, 0xbc82806c
	v_fma_f64 v[5:6], v[3:4], v[7:8], -v[5:6]
	v_add_f64 v[5:6], v[5:6], s[20:21]
	s_mov_b32 s20, 0xfceb588a
	s_mov_b32 s21, 0x3cb55915
	v_fma_f64 v[7:8], v[3:4], v[5:6], -v[7:8]
	;; [unrolled: 4-line block ×14, first 2 shown]
	v_add_f64 v[7:8], v[7:8], s[20:21]
	s_mov_b32 s20, 0x652b82fe
	s_mov_b32 s21, 0x3ff71547
	v_mul_f64 v[10:11], |v[1:2]|, s[20:21]
	s_mov_b32 s20, 0x5423dd80
	s_mov_b32 s21, 0xbe0334ca
	v_fma_f64 v[5:6], v[3:4], v[7:8], -v[5:6]
	v_rndne_f64_e32 v[10:11], v[10:11]
	v_add_f64 v[5:6], v[5:6], s[20:21]
	s_mov_b32 s20, 0xfefa39ef
	s_mov_b32 s21, 0xbfe62e42
	v_fma_f64 v[12:13], v[10:11], s[20:21], |v[1:2]|
	s_mov_b32 s20, 0x9ad53528
	s_mov_b32 s21, 0xbe30790b
	v_fma_f64 v[7:8], v[3:4], v[5:6], -v[7:8]
	v_add_f64 v[7:8], v[7:8], s[20:21]
	s_mov_b32 s20, 0x3b39803f
	s_mov_b32 s21, 0xbc7abc9e
	v_fma_f64 v[12:13], v[10:11], s[20:21], v[12:13]
	s_mov_b32 s20, 0xfca7ab0c
	s_mov_b32 s21, 0x3e928af3
	v_cvt_i32_f64_e32 v10, v[10:11]
	v_fma_f64 v[5:6], v[3:4], v[7:8], -v[5:6]
	v_fma_f64 v[14:15], v[12:13], s[34:35], s[20:21]
	s_mov_b32 s20, 0x94bb46c1
	s_mov_b32 s21, 0xbe5c4153
	v_add_f64 v[5:6], v[5:6], s[20:21]
	s_mov_b32 s20, 0x623fde64
	s_mov_b32 s21, 0x3ec71dee
	v_fma_f64 v[14:15], v[12:13], v[14:15], s[20:21]
	s_mov_b32 s20, 0x7c89e6b0
	s_mov_b32 s21, 0x3efa0199
	v_fma_f64 v[7:8], v[3:4], v[5:6], -v[7:8]
	v_fma_f64 v[14:15], v[12:13], v[14:15], s[20:21]
	s_mov_b32 s20, 0x2e9e5443
	s_mov_b32 s21, 0xbe90dbfd
	v_add_f64 v[7:8], v[7:8], s[20:21]
	s_mov_b32 s20, 0x14761f6e
	s_mov_b32 s21, 0x3f2a01a0
	v_fma_f64 v[14:15], v[12:13], v[14:15], s[20:21]
	s_mov_b32 s20, 0x1852b7b0
	s_mov_b32 s21, 0x3f56c16c
	;; [unrolled: 10-line block ×4, first 2 shown]
	v_fma_f64 v[5:6], v[3:4], v[7:8], -v[5:6]
	v_fma_f64 v[14:15], v[12:13], v[14:15], s[20:21]
	s_mov_b32 s20, 0x53fcdb4c
	s_mov_b32 s21, 0xbf83fda0
	v_add_f64 v[5:6], v[5:6], s[20:21]
	s_mov_b32 s20, 0xb55b1514
	s_mov_b32 s21, 0x3fe8ea18
	v_fma_f64 v[14:15], v[12:13], v[14:15], 1.0
	v_fma_f64 v[3:4], v[3:4], v[5:6], -v[7:8]
	v_fma_f64 v[5:6], v[12:13], v[14:15], 1.0
	v_add_f64 v[3:4], v[3:4], s[20:21]
	v_ldexp_f64 v[5:6], v[5:6], v10
	v_add_f64 v[7:8], v[3:4], -v[7:8]
                                        ; implicit-def: $vgpr3_vgpr4
	v_cndmask_b32_e32 v6, 0x7ff00000, v6, vcc_lo
	v_cndmask_b32_e32 v5, 0, v5, vcc_lo
	s_and_saveexec_b32 s20, s0
	s_xor_b32 s0, exec_lo, s20
	s_cbranch_execz .LBB7_190
; %bb.189:
	v_cmp_gt_f64_e64 s20, 0x10000000, |v[1:2]|
	v_mul_f64 v[7:8], v[7:8], 0.5
	v_cndmask_b32_e64 v3, 0, 0x100, s20
	v_mul_f64 v[5:6], v[5:6], v[7:8]
	v_ldexp_f64 v[1:2], |v[1:2]|, v3
	v_rsq_f64_e32 v[3:4], v[1:2]
	v_cmp_class_f64_e64 vcc_lo, v[1:2], 0x260
	v_mul_f64 v[10:11], v[1:2], v[3:4]
	v_mul_f64 v[3:4], v[3:4], 0.5
	v_fma_f64 v[12:13], -v[3:4], v[10:11], 0.5
	v_fma_f64 v[10:11], v[10:11], v[12:13], v[10:11]
	v_fma_f64 v[3:4], v[3:4], v[12:13], v[3:4]
	v_fma_f64 v[12:13], -v[10:11], v[10:11], v[1:2]
	v_fma_f64 v[10:11], v[12:13], v[3:4], v[10:11]
	v_fma_f64 v[12:13], -v[10:11], v[10:11], v[1:2]
	v_fma_f64 v[3:4], v[12:13], v[3:4], v[10:11]
	v_cndmask_b32_e64 v10, 0, 0xffffff80, s20
	v_ldexp_f64 v[3:4], v[3:4], v10
	v_cndmask_b32_e32 v2, v4, v2, vcc_lo
	v_cndmask_b32_e32 v1, v3, v1, vcc_lo
	v_div_scale_f64 v[3:4], null, v[1:2], v[1:2], v[5:6]
	v_rcp_f64_e32 v[7:8], v[3:4]
	v_fma_f64 v[10:11], -v[3:4], v[7:8], 1.0
	v_fma_f64 v[7:8], v[7:8], v[10:11], v[7:8]
	v_fma_f64 v[10:11], -v[3:4], v[7:8], 1.0
	v_fma_f64 v[7:8], v[7:8], v[10:11], v[7:8]
	v_div_scale_f64 v[10:11], vcc_lo, v[5:6], v[1:2], v[5:6]
	v_mul_f64 v[12:13], v[10:11], v[7:8]
	v_fma_f64 v[3:4], -v[3:4], v[12:13], v[10:11]
	v_div_fmas_f64 v[3:4], v[3:4], v[7:8], v[12:13]
                                        ; implicit-def: $vgpr7_vgpr8
	v_div_fixup_f64 v[3:4], v[3:4], v[1:2], v[5:6]
                                        ; implicit-def: $vgpr1_vgpr2
                                        ; implicit-def: $vgpr5_vgpr6
.LBB7_190:
	s_andn2_saveexec_b32 s0, s0
	s_cbranch_execz .LBB7_192
; %bb.191:
	v_cmp_gt_f64_e64 s20, 0x10000000, |v[1:2]|
	v_mul_f64 v[7:8], v[7:8], -0.5
	v_cndmask_b32_e64 v3, 0, 0x100, s20
	v_mul_f64 v[5:6], v[5:6], v[7:8]
	v_ldexp_f64 v[1:2], |v[1:2]|, v3
	v_rsq_f64_e32 v[3:4], v[1:2]
	v_cmp_class_f64_e64 vcc_lo, v[1:2], 0x260
	v_mul_f64 v[10:11], v[1:2], v[3:4]
	v_mul_f64 v[3:4], v[3:4], 0.5
	v_fma_f64 v[12:13], -v[3:4], v[10:11], 0.5
	v_fma_f64 v[10:11], v[10:11], v[12:13], v[10:11]
	v_fma_f64 v[3:4], v[3:4], v[12:13], v[3:4]
	v_fma_f64 v[12:13], -v[10:11], v[10:11], v[1:2]
	v_fma_f64 v[10:11], v[12:13], v[3:4], v[10:11]
	v_fma_f64 v[12:13], -v[10:11], v[10:11], v[1:2]
	v_fma_f64 v[3:4], v[12:13], v[3:4], v[10:11]
	v_cndmask_b32_e64 v10, 0, 0xffffff80, s20
	v_ldexp_f64 v[3:4], v[3:4], v10
	v_cndmask_b32_e32 v2, v4, v2, vcc_lo
	v_cndmask_b32_e32 v1, v3, v1, vcc_lo
	v_div_scale_f64 v[3:4], null, v[1:2], v[1:2], v[5:6]
	v_rcp_f64_e32 v[7:8], v[3:4]
	v_fma_f64 v[10:11], -v[3:4], v[7:8], 1.0
	v_fma_f64 v[7:8], v[7:8], v[10:11], v[7:8]
	v_fma_f64 v[10:11], -v[3:4], v[7:8], 1.0
	v_fma_f64 v[7:8], v[7:8], v[10:11], v[7:8]
	v_div_scale_f64 v[10:11], vcc_lo, v[5:6], v[1:2], v[5:6]
	v_mul_f64 v[12:13], v[10:11], v[7:8]
	v_fma_f64 v[3:4], -v[3:4], v[12:13], v[10:11]
	v_div_fmas_f64 v[3:4], v[3:4], v[7:8], v[12:13]
	v_div_fixup_f64 v[3:4], v[3:4], v[1:2], v[5:6]
.LBB7_192:
	s_or_b32 exec_lo, exec_lo, s0
.LBB7_193:
	s_or_b32 exec_lo, exec_lo, s1
	v_add_nc_u32_e32 v9, 0x80, v9
	global_store_dwordx2 v0, v[3:4], s[4:5]
	s_or_b32 exec_lo, exec_lo, s30
	s_mov_b32 s20, exec_lo
	v_cmpx_gt_i32_e64 s27, v9
	s_cbranch_execz .LBB7_172
.LBB7_194:
	s_andn2_b32 vcc_lo, exec_lo, s24
	s_cbranch_vccnz .LBB7_199
; %bb.195:
	s_andn2_b32 vcc_lo, exec_lo, s29
	s_cbranch_vccnz .LBB7_200
; %bb.196:
	s_add_i32 s28, s28, 1
	s_cmp_eq_u32 s23, 2
	s_cbranch_scc1 .LBB7_201
; %bb.197:
	v_mov_b32_e32 v2, 0
	v_mov_b32_e32 v0, 0
	;; [unrolled: 1-line block ×3, first 2 shown]
	s_and_b32 s21, s28, 28
	s_mov_b32 s27, 0
	s_mov_b64 s[0:1], s[2:3]
.LBB7_198:                              ; =>This Inner Loop Header: Depth=1
	s_clause 0x1
	s_load_dwordx8 s[36:43], s[0:1], 0x4
	s_load_dwordx4 s[52:55], s[0:1], 0x24
	s_load_dwordx8 s[44:51], s[18:19], 0x0
	s_add_u32 s0, s0, 48
	s_addc_u32 s1, s1, 0
	s_add_i32 s27, s27, 4
	s_add_u32 s18, s18, 32
	s_addc_u32 s19, s19, 0
	s_cmp_eq_u32 s21, s27
	s_waitcnt lgkmcnt(0)
	v_mul_hi_u32 v3, s37, v1
	v_add_nc_u32_e32 v3, v1, v3
	v_lshrrev_b32_e32 v3, s38, v3
	v_mul_hi_u32 v4, s40, v3
	v_mul_lo_u32 v6, v3, s36
	v_add_nc_u32_e32 v4, v3, v4
	v_sub_nc_u32_e32 v1, v1, v6
	v_lshrrev_b32_e32 v4, s41, v4
	v_mul_lo_u32 v6, v1, s44
	v_mul_lo_u32 v8, v1, s45
	v_mul_hi_u32 v5, s43, v4
	v_add_nc_u32_e32 v5, v4, v5
	v_lshrrev_b32_e32 v5, s52, v5
	v_mul_hi_u32 v7, s54, v5
	v_mul_lo_u32 v10, v5, s42
	v_add_nc_u32_e32 v1, v5, v7
	v_mul_lo_u32 v7, v4, s39
	v_sub_nc_u32_e32 v4, v4, v10
	v_lshrrev_b32_e32 v1, s55, v1
	v_mul_lo_u32 v10, v4, s48
	v_mul_lo_u32 v4, v4, s49
	v_sub_nc_u32_e32 v3, v3, v7
	v_mul_lo_u32 v11, v1, s53
	v_mul_lo_u32 v7, v3, s46
	;; [unrolled: 1-line block ×3, first 2 shown]
	v_sub_nc_u32_e32 v5, v5, v11
	v_add3_u32 v0, v6, v0, v7
	v_mul_lo_u32 v11, v5, s50
	v_mul_lo_u32 v5, v5, s51
	v_add3_u32 v2, v8, v2, v3
	v_add3_u32 v0, v10, v0, v11
	;; [unrolled: 1-line block ×3, first 2 shown]
	s_cbranch_scc0 .LBB7_198
	s_branch .LBB7_202
.LBB7_199:
                                        ; implicit-def: $vgpr0
                                        ; implicit-def: $vgpr2
	s_branch .LBB7_206
.LBB7_200:
	v_mov_b32_e32 v0, 0
	v_mov_b32_e32 v2, 0
	s_branch .LBB7_205
.LBB7_201:
	v_mov_b32_e32 v0, 0
	v_mov_b32_e32 v2, 0
	;; [unrolled: 1-line block ×3, first 2 shown]
	s_mov_b32 s21, 0
.LBB7_202:
	s_and_b32 s27, s28, 3
	s_cmp_eq_u32 s27, 0
	s_cbranch_scc1 .LBB7_205
; %bb.203:
	s_lshl_b32 s0, s21, 3
	s_mul_i32 s18, s21, 12
	s_add_u32 s0, s2, s0
	s_addc_u32 s1, s3, 0
	s_add_u32 s0, s0, 0xc4
	s_addc_u32 s1, s1, 0
	;; [unrolled: 2-line block ×3, first 2 shown]
	.p2align	6
.LBB7_204:                              ; =>This Inner Loop Header: Depth=1
	s_clause 0x1
	s_load_dwordx2 s[28:29], s[18:19], 0x4
	s_load_dword s21, s[18:19], 0xc
	s_load_dwordx2 s[30:31], s[0:1], 0x0
	s_add_u32 s18, s18, 12
	s_addc_u32 s19, s19, 0
	s_add_u32 s0, s0, 8
	s_addc_u32 s1, s1, 0
	s_add_i32 s27, s27, -1
	s_cmp_lg_u32 s27, 0
	s_waitcnt lgkmcnt(0)
	v_mul_hi_u32 v3, s29, v1
	v_add_nc_u32_e32 v3, v1, v3
	v_lshrrev_b32_e32 v4, s21, v3
	v_mul_lo_u32 v3, v4, s28
	v_sub_nc_u32_e32 v3, v1, v3
	v_mad_u64_u32 v[0:1], null, v3, s30, v[0:1]
	v_mad_u64_u32 v[2:3], null, v3, s31, v[2:3]
	v_mov_b32_e32 v1, v4
	s_cbranch_scc1 .LBB7_204
.LBB7_205:
	s_cbranch_execnz .LBB7_208
.LBB7_206:
	s_waitcnt lgkmcnt(0)
	v_mul_hi_u32 v0, s13, v9
	s_andn2_b32 vcc_lo, exec_lo, s26
	v_add_nc_u32_e32 v0, v9, v0
	v_lshrrev_b32_e32 v1, s14, v0
	v_mul_lo_u32 v0, v1, s12
	v_sub_nc_u32_e32 v2, v9, v0
	v_mul_lo_u32 v0, v2, s8
	v_mul_lo_u32 v2, v2, s9
	s_cbranch_vccnz .LBB7_208
; %bb.207:
	v_mul_hi_u32 v3, s16, v1
	v_add_nc_u32_e32 v3, v1, v3
	v_lshrrev_b32_e32 v3, s17, v3
	v_mul_lo_u32 v3, v3, s15
	v_sub_nc_u32_e32 v3, v1, v3
	v_mad_u64_u32 v[0:1], null, v3, s10, v[0:1]
	v_mad_u64_u32 v[2:3], null, v3, s11, v[2:3]
.LBB7_208:
	s_waitcnt lgkmcnt(0)
	global_load_dwordx2 v[1:2], v2, s[6:7]
                                        ; implicit-def: $vgpr3_vgpr4
	s_waitcnt vmcnt(0)
	v_cmp_ge_f64_e64 s0, 0x40200000, |v[1:2]|
	s_and_saveexec_b32 s1, s0
	s_xor_b32 s0, exec_lo, s1
	s_cbranch_execz .LBB7_214
; %bb.209:
	v_fma_f64 v[3:4], |v[1:2]|, 0.5, -2.0
	s_mov_b32 s6, 0xc38a0576
	s_mov_b32 s7, 0xbc7857d0
	s_mov_b32 s9, 0x3c499f2a
	s_mov_b32 s8, 0xc3c4014
	s_mov_b32 s1, exec_lo
	v_fma_f64 v[5:6], v[3:4], s[8:9], s[6:7]
	s_mov_b32 s9, 0xbc499f2a
	s_mov_b32 s6, 0xe593bfac
	;; [unrolled: 1-line block ×3, first 2 shown]
	v_fma_f64 v[7:8], v[3:4], v[5:6], s[8:9]
	s_mov_b32 s8, 0x3b39803f
	s_mov_b32 s9, 0xbc7abc9e
	v_add_f64 v[7:8], v[7:8], s[6:7]
	s_mov_b32 s6, 0x7e0d1573
	s_mov_b32 s7, 0xbcd3eaaa
	v_fma_f64 v[5:6], v[3:4], v[7:8], -v[5:6]
	v_add_f64 v[5:6], v[5:6], s[6:7]
	s_mov_b32 s6, 0x615290c
	s_mov_b32 s7, 0x3d011d7f
	v_fma_f64 v[7:8], v[3:4], v[5:6], -v[7:8]
	;; [unrolled: 4-line block ×20, first 2 shown]
	v_add_f64 v[7:8], v[7:8], s[6:7]
	s_mov_b32 s6, 0x652b82fe
	s_mov_b32 s7, 0x3ff71547
	v_mul_f64 v[9:10], |v[1:2]|, s[6:7]
	s_mov_b32 s6, 0x7913a26a
	s_mov_b32 s7, 0xbf85a29f
	v_fma_f64 v[5:6], v[3:4], v[7:8], -v[5:6]
	v_rndne_f64_e32 v[9:10], v[9:10]
	v_add_f64 v[5:6], v[5:6], s[6:7]
	s_mov_b32 s6, 0xfefa39ef
	s_mov_b32 s7, 0xbfe62e42
	v_fma_f64 v[11:12], v[9:10], s[6:7], |v[1:2]|
	s_mov_b32 s6, 0xe7bb2349
	s_mov_b32 s7, 0x3f9951e3
	v_fma_f64 v[7:8], v[3:4], v[5:6], -v[7:8]
	v_fma_f64 v[11:12], v[9:10], s[8:9], v[11:12]
	s_mov_b32 s8, 0x6a5dcb37
	s_mov_b32 s9, 0x3e5ade15
	v_cvt_i32_f64_e32 v9, v[9:10]
	v_add_f64 v[7:8], v[7:8], s[6:7]
	s_mov_b32 s6, 0xfca7ab0c
	s_mov_b32 s7, 0x3e928af3
	v_fma_f64 v[13:14], v[11:12], s[8:9], s[6:7]
	s_mov_b32 s6, 0x537c9ebc
	s_mov_b32 s8, 0x623fde64
	;; [unrolled: 1-line block ×4, first 2 shown]
	v_fma_f64 v[5:6], v[3:4], v[7:8], -v[5:6]
	v_fma_f64 v[13:14], v[11:12], v[13:14], s[8:9]
	s_mov_b32 s8, 0x14761f6e
	s_mov_b32 s9, 0x3f2a01a0
	v_add_f64 v[5:6], v[5:6], s[6:7]
	s_mov_b32 s6, 0x7c89e6b0
	s_mov_b32 s7, 0x3efa0199
	v_fma_f64 v[13:14], v[11:12], v[13:14], s[6:7]
	s_mov_b32 s6, 0xd536f53c
	s_mov_b32 s7, 0x3fba46da
	v_fma_f64 v[7:8], v[3:4], v[5:6], -v[7:8]
	v_fma_f64 v[13:14], v[11:12], v[13:14], s[8:9]
	s_mov_b32 s8, 0x11122322
	s_mov_b32 s9, 0x3f811111
	v_add_f64 v[7:8], v[7:8], s[6:7]
	s_mov_b32 s6, 0x1852b7b0
	s_mov_b32 s7, 0x3f56c16c
	v_fma_f64 v[13:14], v[11:12], v[13:14], s[6:7]
	s_mov_b32 s6, 0x469192e
	s_mov_b32 s7, 0xbfc694d1
	;; [unrolled: 10-line block ×3, first 2 shown]
	v_fma_f64 v[3:4], v[3:4], v[5:6], -v[7:8]
	v_fma_f64 v[5:6], v[11:12], v[13:14], s[8:9]
	v_add_f64 v[3:4], v[3:4], s[6:7]
	s_mov_b32 s6, 11
	s_mov_b32 s7, 0x3fe00000
	v_fma_f64 v[5:6], v[11:12], v[5:6], s[6:7]
	v_add_f64 v[3:4], v[3:4], -v[7:8]
	v_fma_f64 v[5:6], v[11:12], v[5:6], 1.0
	v_mul_f64 v[3:4], v[3:4], 0.5
	v_fma_f64 v[7:8], v[11:12], v[5:6], 1.0
	v_mul_f64 v[5:6], |v[1:2]|, v[3:4]
                                        ; implicit-def: $vgpr3_vgpr4
	v_cmpx_ngt_f64_e32 0, v[1:2]
	s_xor_b32 s1, exec_lo, s1
	s_cbranch_execz .LBB7_211
; %bb.210:
	v_ldexp_f64 v[3:4], v[7:8], v9
	v_cmp_nlt_f64_e64 vcc_lo, 0x40900000, |v[1:2]|
                                        ; implicit-def: $vgpr7_vgpr8
                                        ; implicit-def: $vgpr9
	v_cndmask_b32_e32 v2, 0x7ff00000, v4, vcc_lo
	v_cndmask_b32_e32 v1, 0, v3, vcc_lo
	v_mul_f64 v[3:4], v[1:2], v[5:6]
                                        ; implicit-def: $vgpr1_vgpr2
                                        ; implicit-def: $vgpr5_vgpr6
.LBB7_211:
	s_andn2_saveexec_b32 s1, s1
	s_cbranch_execz .LBB7_213
; %bb.212:
	v_ldexp_f64 v[3:4], -v[7:8], v9
	v_cmp_nlt_f64_e64 vcc_lo, 0x40900000, |v[1:2]|
	v_cndmask_b32_e32 v2, 0xfff00000, v4, vcc_lo
	v_cndmask_b32_e32 v1, 0, v3, vcc_lo
	v_mul_f64 v[3:4], v[1:2], v[5:6]
.LBB7_213:
	s_or_b32 exec_lo, exec_lo, s1
                                        ; implicit-def: $vgpr1_vgpr2
.LBB7_214:
	s_andn2_saveexec_b32 s1, s0
	s_cbranch_execz .LBB7_220
; %bb.215:
	v_and_b32_e32 v4, 0x7fffffff, v2
	v_mov_b32_e32 v3, v1
	s_mov_b32 s6, 0xea87b950
	s_mov_b32 s7, 0x3c545b8a
	;; [unrolled: 1-line block ×4, first 2 shown]
	v_div_scale_f64 v[5:6], null, v[3:4], v[3:4], 0x40400000
	v_div_scale_f64 v[3:4], vcc_lo, 0x40400000, v[3:4], 0x40400000
	v_cmp_ngt_f64_e64 s0, 0, v[1:2]
	v_rcp_f64_e32 v[7:8], v[5:6]
	v_fma_f64 v[9:10], -v[5:6], v[7:8], 1.0
	v_fma_f64 v[7:8], v[7:8], v[9:10], v[7:8]
	v_fma_f64 v[9:10], -v[5:6], v[7:8], 1.0
	v_fma_f64 v[7:8], v[7:8], v[9:10], v[7:8]
	v_mul_f64 v[9:10], v[3:4], v[7:8]
	v_fma_f64 v[3:4], -v[5:6], v[9:10], v[3:4]
	v_div_fmas_f64 v[3:4], v[3:4], v[7:8], v[9:10]
	v_cmp_nlt_f64_e64 vcc_lo, 0x40900000, |v[1:2]|
	v_div_fixup_f64 v[3:4], v[3:4], |v[1:2]|, 0x40400000
	v_add_f64 v[3:4], v[3:4], -2.0
	v_fma_f64 v[5:6], v[3:4], s[8:9], s[6:7]
	s_mov_b32 s9, 0xbc61556d
	s_mov_b32 s6, 0xb2532277
	;; [unrolled: 1-line block ×3, first 2 shown]
	v_fma_f64 v[7:8], v[3:4], v[5:6], s[8:9]
	s_mov_b32 s8, 0x6a5dcb37
	s_mov_b32 s9, 0x3e5ade15
	v_add_f64 v[7:8], v[7:8], s[6:7]
	s_mov_b32 s6, 0x9c773320
	s_mov_b32 s7, 0xbc82806c
	v_fma_f64 v[5:6], v[3:4], v[7:8], -v[5:6]
	v_add_f64 v[5:6], v[5:6], s[6:7]
	s_mov_b32 s6, 0xfceb588a
	s_mov_b32 s7, 0x3cb55915
	v_fma_f64 v[7:8], v[3:4], v[5:6], -v[7:8]
	v_add_f64 v[7:8], v[7:8], s[6:7]
	s_mov_b32 s6, 0x5f04a2d1
	s_mov_b32 s7, 0x3cb7d68e
	v_fma_f64 v[5:6], v[3:4], v[7:8], -v[5:6]
	v_add_f64 v[5:6], v[5:6], s[6:7]
	s_mov_b32 s6, 0x8bc4d22a
	s_mov_b32 s7, 0xbce0efcd
	v_fma_f64 v[7:8], v[3:4], v[5:6], -v[7:8]
	v_add_f64 v[7:8], v[7:8], s[6:7]
	s_mov_b32 s6, 0x138afbc7
	s_mov_b32 s7, 0xbcf12db5
	v_fma_f64 v[5:6], v[3:4], v[7:8], -v[5:6]
	v_add_f64 v[5:6], v[5:6], s[6:7]
	s_mov_b32 s6, 0x762d31e8
	s_mov_b32 s7, 0x3d0776e1
	v_fma_f64 v[7:8], v[3:4], v[5:6], -v[7:8]
	v_add_f64 v[7:8], v[7:8], s[6:7]
	s_mov_b32 s6, 0x26b3281e
	s_mov_b32 s7, 0x3d280d3c
	v_fma_f64 v[5:6], v[3:4], v[7:8], -v[5:6]
	v_add_f64 v[5:6], v[5:6], s[6:7]
	s_mov_b32 s6, 0x2e6d22a0
	s_mov_b32 s7, 0xbd17a948
	v_fma_f64 v[7:8], v[3:4], v[5:6], -v[7:8]
	v_add_f64 v[7:8], v[7:8], s[6:7]
	s_mov_b32 s6, 0x8e73e255
	s_mov_b32 s7, 0xbd5cbc45
	v_fma_f64 v[5:6], v[3:4], v[7:8], -v[5:6]
	v_add_f64 v[5:6], v[5:6], s[6:7]
	s_mov_b32 s6, 0x76ab493
	s_mov_b32 s7, 0xbd6953e1
	v_fma_f64 v[7:8], v[3:4], v[5:6], -v[7:8]
	v_add_f64 v[7:8], v[7:8], s[6:7]
	s_mov_b32 s6, 0xf6439fa3
	s_mov_b32 s7, 0x3d81e7d3
	v_fma_f64 v[5:6], v[3:4], v[7:8], -v[5:6]
	v_add_f64 v[5:6], v[5:6], s[6:7]
	s_mov_b32 s6, 0x653c457b
	s_mov_b32 s7, 0x3daf101f
	v_fma_f64 v[7:8], v[3:4], v[5:6], -v[7:8]
	v_add_f64 v[7:8], v[7:8], s[6:7]
	s_mov_b32 s6, 0xf1587865
	s_mov_b32 s7, 0x3dc1e1a1
	v_fma_f64 v[5:6], v[3:4], v[7:8], -v[5:6]
	v_add_f64 v[5:6], v[5:6], s[6:7]
	s_mov_b32 s6, 0xd4504c0c
	s_mov_b32 s7, 0xbdb4dcf9
	v_fma_f64 v[7:8], v[3:4], v[5:6], -v[7:8]
	v_add_f64 v[7:8], v[7:8], s[6:7]
	s_mov_b32 s6, 0x652b82fe
	s_mov_b32 s7, 0x3ff71547
	v_mul_f64 v[9:10], |v[1:2]|, s[6:7]
	s_mov_b32 s6, 0x5423dd80
	s_mov_b32 s7, 0xbe0334ca
	v_fma_f64 v[5:6], v[3:4], v[7:8], -v[5:6]
	v_rndne_f64_e32 v[9:10], v[9:10]
	v_add_f64 v[5:6], v[5:6], s[6:7]
	s_mov_b32 s6, 0xfefa39ef
	s_mov_b32 s7, 0xbfe62e42
	v_fma_f64 v[11:12], v[9:10], s[6:7], |v[1:2]|
	s_mov_b32 s6, 0x9ad53528
	s_mov_b32 s7, 0xbe30790b
	v_fma_f64 v[7:8], v[3:4], v[5:6], -v[7:8]
	v_add_f64 v[7:8], v[7:8], s[6:7]
	s_mov_b32 s6, 0x3b39803f
	s_mov_b32 s7, 0xbc7abc9e
	v_fma_f64 v[11:12], v[9:10], s[6:7], v[11:12]
	s_mov_b32 s6, 0xfca7ab0c
	s_mov_b32 s7, 0x3e928af3
	v_cvt_i32_f64_e32 v9, v[9:10]
	v_fma_f64 v[5:6], v[3:4], v[7:8], -v[5:6]
	v_fma_f64 v[13:14], v[11:12], s[8:9], s[6:7]
	s_mov_b32 s6, 0x94bb46c1
	s_mov_b32 s7, 0xbe5c4153
	v_add_f64 v[5:6], v[5:6], s[6:7]
	s_mov_b32 s6, 0x623fde64
	s_mov_b32 s7, 0x3ec71dee
	v_fma_f64 v[13:14], v[11:12], v[13:14], s[6:7]
	s_mov_b32 s6, 0x7c89e6b0
	s_mov_b32 s7, 0x3efa0199
	v_fma_f64 v[7:8], v[3:4], v[5:6], -v[7:8]
	v_fma_f64 v[13:14], v[11:12], v[13:14], s[6:7]
	s_mov_b32 s6, 0x2e9e5443
	s_mov_b32 s7, 0xbe90dbfd
	v_add_f64 v[7:8], v[7:8], s[6:7]
	s_mov_b32 s6, 0x14761f6e
	s_mov_b32 s7, 0x3f2a01a0
	v_fma_f64 v[13:14], v[11:12], v[13:14], s[6:7]
	s_mov_b32 s6, 0x1852b7b0
	s_mov_b32 s7, 0x3f56c16c
	;; [unrolled: 10-line block ×4, first 2 shown]
	v_fma_f64 v[5:6], v[3:4], v[7:8], -v[5:6]
	v_fma_f64 v[13:14], v[11:12], v[13:14], s[6:7]
	s_mov_b32 s6, 0x53fcdb4c
	s_mov_b32 s7, 0xbf83fda0
	v_add_f64 v[5:6], v[5:6], s[6:7]
	s_mov_b32 s6, 0xb55b1514
	s_mov_b32 s7, 0x3fe8ea18
	v_fma_f64 v[13:14], v[11:12], v[13:14], 1.0
	v_fma_f64 v[3:4], v[3:4], v[5:6], -v[7:8]
	v_fma_f64 v[5:6], v[11:12], v[13:14], 1.0
	v_add_f64 v[3:4], v[3:4], s[6:7]
	v_ldexp_f64 v[5:6], v[5:6], v9
	v_add_f64 v[7:8], v[3:4], -v[7:8]
                                        ; implicit-def: $vgpr3_vgpr4
	v_cndmask_b32_e32 v6, 0x7ff00000, v6, vcc_lo
	v_cndmask_b32_e32 v5, 0, v5, vcc_lo
	s_and_saveexec_b32 s6, s0
	s_xor_b32 s0, exec_lo, s6
	s_cbranch_execz .LBB7_217
; %bb.216:
	v_cmp_gt_f64_e64 s6, 0x10000000, |v[1:2]|
	v_mul_f64 v[7:8], v[7:8], 0.5
	v_cndmask_b32_e64 v3, 0, 0x100, s6
	v_mul_f64 v[5:6], v[5:6], v[7:8]
	v_ldexp_f64 v[1:2], |v[1:2]|, v3
	v_rsq_f64_e32 v[3:4], v[1:2]
	v_cmp_class_f64_e64 vcc_lo, v[1:2], 0x260
	v_mul_f64 v[9:10], v[1:2], v[3:4]
	v_mul_f64 v[3:4], v[3:4], 0.5
	v_fma_f64 v[11:12], -v[3:4], v[9:10], 0.5
	v_fma_f64 v[9:10], v[9:10], v[11:12], v[9:10]
	v_fma_f64 v[3:4], v[3:4], v[11:12], v[3:4]
	v_fma_f64 v[11:12], -v[9:10], v[9:10], v[1:2]
	v_fma_f64 v[9:10], v[11:12], v[3:4], v[9:10]
	v_fma_f64 v[11:12], -v[9:10], v[9:10], v[1:2]
	v_fma_f64 v[3:4], v[11:12], v[3:4], v[9:10]
	v_cndmask_b32_e64 v9, 0, 0xffffff80, s6
	v_ldexp_f64 v[3:4], v[3:4], v9
	v_cndmask_b32_e32 v2, v4, v2, vcc_lo
	v_cndmask_b32_e32 v1, v3, v1, vcc_lo
	v_div_scale_f64 v[3:4], null, v[1:2], v[1:2], v[5:6]
	v_rcp_f64_e32 v[7:8], v[3:4]
	v_fma_f64 v[9:10], -v[3:4], v[7:8], 1.0
	v_fma_f64 v[7:8], v[7:8], v[9:10], v[7:8]
	v_fma_f64 v[9:10], -v[3:4], v[7:8], 1.0
	v_fma_f64 v[7:8], v[7:8], v[9:10], v[7:8]
	v_div_scale_f64 v[9:10], vcc_lo, v[5:6], v[1:2], v[5:6]
	v_mul_f64 v[11:12], v[9:10], v[7:8]
	v_fma_f64 v[3:4], -v[3:4], v[11:12], v[9:10]
	v_div_fmas_f64 v[3:4], v[3:4], v[7:8], v[11:12]
                                        ; implicit-def: $vgpr7_vgpr8
	v_div_fixup_f64 v[3:4], v[3:4], v[1:2], v[5:6]
                                        ; implicit-def: $vgpr1_vgpr2
                                        ; implicit-def: $vgpr5_vgpr6
.LBB7_217:
	s_andn2_saveexec_b32 s0, s0
	s_cbranch_execz .LBB7_219
; %bb.218:
	v_cmp_gt_f64_e64 s6, 0x10000000, |v[1:2]|
	v_mul_f64 v[7:8], v[7:8], -0.5
	v_cndmask_b32_e64 v3, 0, 0x100, s6
	v_mul_f64 v[5:6], v[5:6], v[7:8]
	v_ldexp_f64 v[1:2], |v[1:2]|, v3
	v_rsq_f64_e32 v[3:4], v[1:2]
	v_cmp_class_f64_e64 vcc_lo, v[1:2], 0x260
	v_mul_f64 v[9:10], v[1:2], v[3:4]
	v_mul_f64 v[3:4], v[3:4], 0.5
	v_fma_f64 v[11:12], -v[3:4], v[9:10], 0.5
	v_fma_f64 v[9:10], v[9:10], v[11:12], v[9:10]
	v_fma_f64 v[3:4], v[3:4], v[11:12], v[3:4]
	v_fma_f64 v[11:12], -v[9:10], v[9:10], v[1:2]
	v_fma_f64 v[9:10], v[11:12], v[3:4], v[9:10]
	v_fma_f64 v[11:12], -v[9:10], v[9:10], v[1:2]
	v_fma_f64 v[3:4], v[11:12], v[3:4], v[9:10]
	v_cndmask_b32_e64 v9, 0, 0xffffff80, s6
	v_ldexp_f64 v[3:4], v[3:4], v9
	v_cndmask_b32_e32 v2, v4, v2, vcc_lo
	v_cndmask_b32_e32 v1, v3, v1, vcc_lo
	v_div_scale_f64 v[3:4], null, v[1:2], v[1:2], v[5:6]
	v_rcp_f64_e32 v[7:8], v[3:4]
	v_fma_f64 v[9:10], -v[3:4], v[7:8], 1.0
	v_fma_f64 v[7:8], v[7:8], v[9:10], v[7:8]
	v_fma_f64 v[9:10], -v[3:4], v[7:8], 1.0
	v_fma_f64 v[7:8], v[7:8], v[9:10], v[7:8]
	v_div_scale_f64 v[9:10], vcc_lo, v[5:6], v[1:2], v[5:6]
	v_mul_f64 v[11:12], v[9:10], v[7:8]
	v_fma_f64 v[3:4], -v[3:4], v[11:12], v[9:10]
	v_div_fmas_f64 v[3:4], v[3:4], v[7:8], v[11:12]
	v_div_fixup_f64 v[3:4], v[3:4], v[1:2], v[5:6]
.LBB7_219:
	s_or_b32 exec_lo, exec_lo, s0
.LBB7_220:
	s_or_b32 exec_lo, exec_lo, s1
	global_store_dwordx2 v0, v[3:4], s[4:5]
	s_or_b32 exec_lo, exec_lo, s20
                                        ; implicit-def: $vgpr12
                                        ; implicit-def: $vgpr9
	s_andn2_saveexec_b32 s0, s25
	s_cbranch_execz .LBB7_173
	s_branch .LBB7_8
	.section	.rodata,"a",@progbits
	.p2align	6, 0x0
	.amdhsa_kernel _ZN2at6native32elementwise_kernel_manual_unrollILi128ELi4EZNS0_22gpu_kernel_impl_nocastIZZZNS0_12_GLOBAL__N_130modified_bessel_i1_kernel_cudaERNS_18TensorIteratorBaseEENKUlvE_clEvENKUlvE_clEvEUldE_EEvS5_RKT_EUlibE_EEviT1_
		.amdhsa_group_segment_fixed_size 0
		.amdhsa_private_segment_fixed_size 0
		.amdhsa_kernarg_size 360
		.amdhsa_user_sgpr_count 6
		.amdhsa_user_sgpr_private_segment_buffer 1
		.amdhsa_user_sgpr_dispatch_ptr 0
		.amdhsa_user_sgpr_queue_ptr 0
		.amdhsa_user_sgpr_kernarg_segment_ptr 1
		.amdhsa_user_sgpr_dispatch_id 0
		.amdhsa_user_sgpr_flat_scratch_init 0
		.amdhsa_user_sgpr_private_segment_size 0
		.amdhsa_wavefront_size32 1
		.amdhsa_uses_dynamic_stack 0
		.amdhsa_system_sgpr_private_segment_wavefront_offset 0
		.amdhsa_system_sgpr_workgroup_id_x 1
		.amdhsa_system_sgpr_workgroup_id_y 0
		.amdhsa_system_sgpr_workgroup_id_z 0
		.amdhsa_system_sgpr_workgroup_info 0
		.amdhsa_system_vgpr_workitem_id 0
		.amdhsa_next_free_vgpr 25
		.amdhsa_next_free_sgpr 56
		.amdhsa_reserve_vcc 1
		.amdhsa_reserve_flat_scratch 0
		.amdhsa_float_round_mode_32 0
		.amdhsa_float_round_mode_16_64 0
		.amdhsa_float_denorm_mode_32 3
		.amdhsa_float_denorm_mode_16_64 3
		.amdhsa_dx10_clamp 1
		.amdhsa_ieee_mode 1
		.amdhsa_fp16_overflow 0
		.amdhsa_workgroup_processor_mode 1
		.amdhsa_memory_ordered 1
		.amdhsa_forward_progress 1
		.amdhsa_shared_vgpr_count 0
		.amdhsa_exception_fp_ieee_invalid_op 0
		.amdhsa_exception_fp_denorm_src 0
		.amdhsa_exception_fp_ieee_div_zero 0
		.amdhsa_exception_fp_ieee_overflow 0
		.amdhsa_exception_fp_ieee_underflow 0
		.amdhsa_exception_fp_ieee_inexact 0
		.amdhsa_exception_int_div_zero 0
	.end_amdhsa_kernel
	.section	.text._ZN2at6native32elementwise_kernel_manual_unrollILi128ELi4EZNS0_22gpu_kernel_impl_nocastIZZZNS0_12_GLOBAL__N_130modified_bessel_i1_kernel_cudaERNS_18TensorIteratorBaseEENKUlvE_clEvENKUlvE_clEvEUldE_EEvS5_RKT_EUlibE_EEviT1_,"axG",@progbits,_ZN2at6native32elementwise_kernel_manual_unrollILi128ELi4EZNS0_22gpu_kernel_impl_nocastIZZZNS0_12_GLOBAL__N_130modified_bessel_i1_kernel_cudaERNS_18TensorIteratorBaseEENKUlvE_clEvENKUlvE_clEvEUldE_EEvS5_RKT_EUlibE_EEviT1_,comdat
.Lfunc_end7:
	.size	_ZN2at6native32elementwise_kernel_manual_unrollILi128ELi4EZNS0_22gpu_kernel_impl_nocastIZZZNS0_12_GLOBAL__N_130modified_bessel_i1_kernel_cudaERNS_18TensorIteratorBaseEENKUlvE_clEvENKUlvE_clEvEUldE_EEvS5_RKT_EUlibE_EEviT1_, .Lfunc_end7-_ZN2at6native32elementwise_kernel_manual_unrollILi128ELi4EZNS0_22gpu_kernel_impl_nocastIZZZNS0_12_GLOBAL__N_130modified_bessel_i1_kernel_cudaERNS_18TensorIteratorBaseEENKUlvE_clEvENKUlvE_clEvEUldE_EEvS5_RKT_EUlibE_EEviT1_
                                        ; -- End function
	.set _ZN2at6native32elementwise_kernel_manual_unrollILi128ELi4EZNS0_22gpu_kernel_impl_nocastIZZZNS0_12_GLOBAL__N_130modified_bessel_i1_kernel_cudaERNS_18TensorIteratorBaseEENKUlvE_clEvENKUlvE_clEvEUldE_EEvS5_RKT_EUlibE_EEviT1_.num_vgpr, 25
	.set _ZN2at6native32elementwise_kernel_manual_unrollILi128ELi4EZNS0_22gpu_kernel_impl_nocastIZZZNS0_12_GLOBAL__N_130modified_bessel_i1_kernel_cudaERNS_18TensorIteratorBaseEENKUlvE_clEvENKUlvE_clEvEUldE_EEvS5_RKT_EUlibE_EEviT1_.num_agpr, 0
	.set _ZN2at6native32elementwise_kernel_manual_unrollILi128ELi4EZNS0_22gpu_kernel_impl_nocastIZZZNS0_12_GLOBAL__N_130modified_bessel_i1_kernel_cudaERNS_18TensorIteratorBaseEENKUlvE_clEvENKUlvE_clEvEUldE_EEvS5_RKT_EUlibE_EEviT1_.numbered_sgpr, 56
	.set _ZN2at6native32elementwise_kernel_manual_unrollILi128ELi4EZNS0_22gpu_kernel_impl_nocastIZZZNS0_12_GLOBAL__N_130modified_bessel_i1_kernel_cudaERNS_18TensorIteratorBaseEENKUlvE_clEvENKUlvE_clEvEUldE_EEvS5_RKT_EUlibE_EEviT1_.num_named_barrier, 0
	.set _ZN2at6native32elementwise_kernel_manual_unrollILi128ELi4EZNS0_22gpu_kernel_impl_nocastIZZZNS0_12_GLOBAL__N_130modified_bessel_i1_kernel_cudaERNS_18TensorIteratorBaseEENKUlvE_clEvENKUlvE_clEvEUldE_EEvS5_RKT_EUlibE_EEviT1_.private_seg_size, 0
	.set _ZN2at6native32elementwise_kernel_manual_unrollILi128ELi4EZNS0_22gpu_kernel_impl_nocastIZZZNS0_12_GLOBAL__N_130modified_bessel_i1_kernel_cudaERNS_18TensorIteratorBaseEENKUlvE_clEvENKUlvE_clEvEUldE_EEvS5_RKT_EUlibE_EEviT1_.uses_vcc, 1
	.set _ZN2at6native32elementwise_kernel_manual_unrollILi128ELi4EZNS0_22gpu_kernel_impl_nocastIZZZNS0_12_GLOBAL__N_130modified_bessel_i1_kernel_cudaERNS_18TensorIteratorBaseEENKUlvE_clEvENKUlvE_clEvEUldE_EEvS5_RKT_EUlibE_EEviT1_.uses_flat_scratch, 0
	.set _ZN2at6native32elementwise_kernel_manual_unrollILi128ELi4EZNS0_22gpu_kernel_impl_nocastIZZZNS0_12_GLOBAL__N_130modified_bessel_i1_kernel_cudaERNS_18TensorIteratorBaseEENKUlvE_clEvENKUlvE_clEvEUldE_EEvS5_RKT_EUlibE_EEviT1_.has_dyn_sized_stack, 0
	.set _ZN2at6native32elementwise_kernel_manual_unrollILi128ELi4EZNS0_22gpu_kernel_impl_nocastIZZZNS0_12_GLOBAL__N_130modified_bessel_i1_kernel_cudaERNS_18TensorIteratorBaseEENKUlvE_clEvENKUlvE_clEvEUldE_EEvS5_RKT_EUlibE_EEviT1_.has_recursion, 0
	.set _ZN2at6native32elementwise_kernel_manual_unrollILi128ELi4EZNS0_22gpu_kernel_impl_nocastIZZZNS0_12_GLOBAL__N_130modified_bessel_i1_kernel_cudaERNS_18TensorIteratorBaseEENKUlvE_clEvENKUlvE_clEvEUldE_EEvS5_RKT_EUlibE_EEviT1_.has_indirect_call, 0
	.section	.AMDGPU.csdata,"",@progbits
; Kernel info:
; codeLenInByte = 31744
; TotalNumSgprs: 58
; NumVgprs: 25
; ScratchSize: 0
; MemoryBound: 0
; FloatMode: 240
; IeeeMode: 1
; LDSByteSize: 0 bytes/workgroup (compile time only)
; SGPRBlocks: 0
; VGPRBlocks: 3
; NumSGPRsForWavesPerEU: 58
; NumVGPRsForWavesPerEU: 25
; Occupancy: 16
; WaveLimiterHint : 1
; COMPUTE_PGM_RSRC2:SCRATCH_EN: 0
; COMPUTE_PGM_RSRC2:USER_SGPR: 6
; COMPUTE_PGM_RSRC2:TRAP_HANDLER: 0
; COMPUTE_PGM_RSRC2:TGID_X_EN: 1
; COMPUTE_PGM_RSRC2:TGID_Y_EN: 0
; COMPUTE_PGM_RSRC2:TGID_Z_EN: 0
; COMPUTE_PGM_RSRC2:TIDIG_COMP_CNT: 0
	.section	.text._ZN2at6native32elementwise_kernel_manual_unrollILi128ELi4EZNS0_15gpu_kernel_implIZZZNS0_12_GLOBAL__N_130modified_bessel_i1_kernel_cudaERNS_18TensorIteratorBaseEENKUlvE_clEvENKUlvE_clEvEUldE_EEvS5_RKT_EUlibE_EEviT1_,"axG",@progbits,_ZN2at6native32elementwise_kernel_manual_unrollILi128ELi4EZNS0_15gpu_kernel_implIZZZNS0_12_GLOBAL__N_130modified_bessel_i1_kernel_cudaERNS_18TensorIteratorBaseEENKUlvE_clEvENKUlvE_clEvEUldE_EEvS5_RKT_EUlibE_EEviT1_,comdat
	.globl	_ZN2at6native32elementwise_kernel_manual_unrollILi128ELi4EZNS0_15gpu_kernel_implIZZZNS0_12_GLOBAL__N_130modified_bessel_i1_kernel_cudaERNS_18TensorIteratorBaseEENKUlvE_clEvENKUlvE_clEvEUldE_EEvS5_RKT_EUlibE_EEviT1_ ; -- Begin function _ZN2at6native32elementwise_kernel_manual_unrollILi128ELi4EZNS0_15gpu_kernel_implIZZZNS0_12_GLOBAL__N_130modified_bessel_i1_kernel_cudaERNS_18TensorIteratorBaseEENKUlvE_clEvENKUlvE_clEvEUldE_EEvS5_RKT_EUlibE_EEviT1_
	.p2align	8
	.type	_ZN2at6native32elementwise_kernel_manual_unrollILi128ELi4EZNS0_15gpu_kernel_implIZZZNS0_12_GLOBAL__N_130modified_bessel_i1_kernel_cudaERNS_18TensorIteratorBaseEENKUlvE_clEvENKUlvE_clEvEUldE_EEvS5_RKT_EUlibE_EEviT1_,@function
_ZN2at6native32elementwise_kernel_manual_unrollILi128ELi4EZNS0_15gpu_kernel_implIZZZNS0_12_GLOBAL__N_130modified_bessel_i1_kernel_cudaERNS_18TensorIteratorBaseEENKUlvE_clEvENKUlvE_clEvEUldE_EEvS5_RKT_EUlibE_EEviT1_: ; @_ZN2at6native32elementwise_kernel_manual_unrollILi128ELi4EZNS0_15gpu_kernel_implIZZZNS0_12_GLOBAL__N_130modified_bessel_i1_kernel_cudaERNS_18TensorIteratorBaseEENKUlvE_clEvENKUlvE_clEvEUldE_EEvS5_RKT_EUlibE_EEviT1_
; %bb.0:
	v_mov_b32_e32 v1, 0
	s_clause 0x2
	s_load_dword s12, s[4:5], 0x0
	s_load_dwordx2 s[2:3], s[4:5], 0x18
	s_load_dwordx4 s[8:11], s[4:5], 0x8
	v_lshl_or_b32 v14, s6, 9, v0
	s_mov_b32 s7, 0
	global_load_ushort v1, v1, s[4:5] offset:33
	s_mov_b32 s4, 0
	v_or_b32_e32 v0, 0x180, v14
	s_waitcnt vmcnt(0)
	v_readfirstlane_b32 s1, v1
	s_and_b32 s0, 0xffff, s1
	s_lshr_b32 s5, s0, 8
	s_mov_b32 s0, exec_lo
	s_waitcnt lgkmcnt(0)
	v_cmpx_le_i32_e64 s12, v0
	s_xor_b32 s6, exec_lo, s0
	s_cbranch_execz .LBB8_1079
; %bb.1:
	s_mov_b32 s17, -1
	s_mov_b32 s15, 0
	s_mov_b32 s13, 0
	s_mov_b32 s14, exec_lo
	v_cmpx_gt_i32_e64 s12, v14
	s_cbranch_execz .LBB8_264
; %bb.2:
	v_mul_lo_u32 v0, v14, s3
	s_and_b32 s0, 0xffff, s5
	s_cmp_lt_i32 s0, 11
	v_ashrrev_i32_e32 v1, 31, v0
	v_add_co_u32 v0, vcc_lo, s10, v0
	v_add_co_ci_u32_e64 v1, null, s11, v1, vcc_lo
	s_cbranch_scc1 .LBB8_9
; %bb.3:
	s_cmp_gt_i32 s0, 25
	s_cbranch_scc0 .LBB8_30
; %bb.4:
	s_cmp_gt_i32 s0, 28
	s_cbranch_scc0 .LBB8_33
	;; [unrolled: 3-line block ×4, first 2 shown]
; %bb.7:
	s_cmp_eq_u32 s0, 46
	s_mov_b32 s16, 0
	s_cbranch_scc0 .LBB8_39
; %bb.8:
	global_load_dword v2, v[0:1], off
	s_mov_b32 s7, -1
	s_waitcnt vmcnt(0)
	v_lshlrev_b32_e32 v2, 16, v2
	v_cvt_f64_f32_e32 v[2:3], v2
	s_branch .LBB8_41
.LBB8_9:
                                        ; implicit-def: $vgpr2_vgpr3
	s_cbranch_execnz .LBB8_214
.LBB8_10:
	s_andn2_b32 vcc_lo, exec_lo, s7
	s_cbranch_vccnz .LBB8_261
.LBB8_11:
	s_waitcnt vmcnt(0)
	v_cmp_ge_f64_e64 s0, 0x40200000, |v[2:3]|
                                        ; implicit-def: $vgpr0_vgpr1
	s_and_saveexec_b32 s7, s0
	s_xor_b32 s0, exec_lo, s7
	s_cbranch_execz .LBB8_17
; %bb.12:
	v_fma_f64 v[0:1], |v[2:3]|, 0.5, -2.0
	s_mov_b32 s16, 0xc38a0576
	s_mov_b32 s17, 0xbc7857d0
	;; [unrolled: 1-line block ×4, first 2 shown]
	s_mov_b32 s7, exec_lo
	v_fma_f64 v[4:5], v[0:1], s[18:19], s[16:17]
	s_mov_b32 s19, 0xbc499f2a
	s_mov_b32 s16, 0xe593bfac
	s_mov_b32 s17, 0x3ca663e3
	v_fma_f64 v[6:7], v[0:1], v[4:5], s[18:19]
	s_mov_b32 s18, 0x3b39803f
	s_mov_b32 s19, 0xbc7abc9e
	v_add_f64 v[6:7], v[6:7], s[16:17]
	s_mov_b32 s16, 0x7e0d1573
	s_mov_b32 s17, 0xbcd3eaaa
	v_fma_f64 v[4:5], v[0:1], v[6:7], -v[4:5]
	v_add_f64 v[4:5], v[4:5], s[16:17]
	s_mov_b32 s16, 0x615290c
	s_mov_b32 s17, 0x3d011d7f
	v_fma_f64 v[6:7], v[0:1], v[4:5], -v[6:7]
	;; [unrolled: 4-line block ×20, first 2 shown]
	v_add_f64 v[6:7], v[6:7], s[16:17]
	s_mov_b32 s16, 0x652b82fe
	s_mov_b32 s17, 0x3ff71547
	v_mul_f64 v[8:9], |v[2:3]|, s[16:17]
	s_mov_b32 s16, 0x7913a26a
	s_mov_b32 s17, 0xbf85a29f
	v_fma_f64 v[4:5], v[0:1], v[6:7], -v[4:5]
	v_rndne_f64_e32 v[8:9], v[8:9]
	v_add_f64 v[4:5], v[4:5], s[16:17]
	s_mov_b32 s16, 0xfefa39ef
	s_mov_b32 s17, 0xbfe62e42
	v_fma_f64 v[10:11], v[8:9], s[16:17], |v[2:3]|
	s_mov_b32 s16, 0xe7bb2349
	s_mov_b32 s17, 0x3f9951e3
	v_fma_f64 v[6:7], v[0:1], v[4:5], -v[6:7]
	v_fma_f64 v[10:11], v[8:9], s[18:19], v[10:11]
	s_mov_b32 s18, 0x6a5dcb37
	s_mov_b32 s19, 0x3e5ade15
	v_cvt_i32_f64_e32 v8, v[8:9]
	v_add_f64 v[6:7], v[6:7], s[16:17]
	s_mov_b32 s16, 0xfca7ab0c
	s_mov_b32 s17, 0x3e928af3
	v_fma_f64 v[12:13], v[10:11], s[18:19], s[16:17]
	s_mov_b32 s16, 0x537c9ebc
	s_mov_b32 s18, 0x623fde64
	;; [unrolled: 1-line block ×4, first 2 shown]
	v_fma_f64 v[4:5], v[0:1], v[6:7], -v[4:5]
	v_fma_f64 v[12:13], v[10:11], v[12:13], s[18:19]
	s_mov_b32 s18, 0x14761f6e
	s_mov_b32 s19, 0x3f2a01a0
	v_add_f64 v[4:5], v[4:5], s[16:17]
	s_mov_b32 s16, 0x7c89e6b0
	s_mov_b32 s17, 0x3efa0199
	v_fma_f64 v[12:13], v[10:11], v[12:13], s[16:17]
	s_mov_b32 s16, 0xd536f53c
	s_mov_b32 s17, 0x3fba46da
	v_fma_f64 v[6:7], v[0:1], v[4:5], -v[6:7]
	v_fma_f64 v[12:13], v[10:11], v[12:13], s[18:19]
	s_mov_b32 s18, 0x11122322
	s_mov_b32 s19, 0x3f811111
	v_add_f64 v[6:7], v[6:7], s[16:17]
	s_mov_b32 s16, 0x1852b7b0
	s_mov_b32 s17, 0x3f56c16c
	v_fma_f64 v[12:13], v[10:11], v[12:13], s[16:17]
	s_mov_b32 s16, 0x469192e
	s_mov_b32 s17, 0xbfc694d1
	;; [unrolled: 10-line block ×3, first 2 shown]
	v_fma_f64 v[0:1], v[0:1], v[4:5], -v[6:7]
	v_fma_f64 v[4:5], v[10:11], v[12:13], s[18:19]
	v_add_f64 v[0:1], v[0:1], s[16:17]
	s_mov_b32 s16, 11
	s_mov_b32 s17, 0x3fe00000
	v_fma_f64 v[4:5], v[10:11], v[4:5], s[16:17]
	v_add_f64 v[0:1], v[0:1], -v[6:7]
	v_fma_f64 v[4:5], v[10:11], v[4:5], 1.0
	v_mul_f64 v[0:1], v[0:1], 0.5
	v_fma_f64 v[6:7], v[10:11], v[4:5], 1.0
	v_mul_f64 v[4:5], |v[2:3]|, v[0:1]
                                        ; implicit-def: $vgpr0_vgpr1
	v_cmpx_ngt_f64_e32 0, v[2:3]
	s_xor_b32 s7, exec_lo, s7
	s_cbranch_execz .LBB8_14
; %bb.13:
	v_ldexp_f64 v[0:1], v[6:7], v8
	v_cmp_nlt_f64_e64 vcc_lo, 0x40900000, |v[2:3]|
                                        ; implicit-def: $vgpr6_vgpr7
                                        ; implicit-def: $vgpr8
                                        ; implicit-def: $vgpr2_vgpr3
	v_cndmask_b32_e32 v1, 0x7ff00000, v1, vcc_lo
	v_cndmask_b32_e32 v0, 0, v0, vcc_lo
	v_mul_f64 v[0:1], v[0:1], v[4:5]
                                        ; implicit-def: $vgpr4_vgpr5
.LBB8_14:
	s_andn2_saveexec_b32 s7, s7
	s_cbranch_execz .LBB8_16
; %bb.15:
	v_ldexp_f64 v[0:1], -v[6:7], v8
	v_cmp_nlt_f64_e64 vcc_lo, 0x40900000, |v[2:3]|
	v_cndmask_b32_e32 v1, 0xfff00000, v1, vcc_lo
	v_cndmask_b32_e32 v0, 0, v0, vcc_lo
	v_mul_f64 v[0:1], v[0:1], v[4:5]
.LBB8_16:
	s_or_b32 exec_lo, exec_lo, s7
                                        ; implicit-def: $vgpr2_vgpr3
.LBB8_17:
	s_andn2_saveexec_b32 s7, s0
	s_cbranch_execz .LBB8_23
; %bb.18:
	v_and_b32_e32 v1, 0x7fffffff, v3
	v_mov_b32_e32 v0, v2
	s_mov_b32 s16, 0xea87b950
	s_mov_b32 s17, 0x3c545b8a
	;; [unrolled: 1-line block ×4, first 2 shown]
	v_div_scale_f64 v[4:5], null, v[0:1], v[0:1], 0x40400000
	v_div_scale_f64 v[0:1], vcc_lo, 0x40400000, v[0:1], 0x40400000
	v_cmp_ngt_f64_e64 s0, 0, v[2:3]
	v_rcp_f64_e32 v[6:7], v[4:5]
	v_fma_f64 v[8:9], -v[4:5], v[6:7], 1.0
	v_fma_f64 v[6:7], v[6:7], v[8:9], v[6:7]
	v_fma_f64 v[8:9], -v[4:5], v[6:7], 1.0
	v_fma_f64 v[6:7], v[6:7], v[8:9], v[6:7]
	v_mul_f64 v[8:9], v[0:1], v[6:7]
	v_fma_f64 v[0:1], -v[4:5], v[8:9], v[0:1]
	v_div_fmas_f64 v[0:1], v[0:1], v[6:7], v[8:9]
	v_cmp_nlt_f64_e64 vcc_lo, 0x40900000, |v[2:3]|
	v_div_fixup_f64 v[0:1], v[0:1], |v[2:3]|, 0x40400000
	v_add_f64 v[0:1], v[0:1], -2.0
	v_fma_f64 v[4:5], v[0:1], s[18:19], s[16:17]
	s_mov_b32 s19, 0xbc61556d
	s_mov_b32 s16, 0xb2532277
	;; [unrolled: 1-line block ×3, first 2 shown]
	v_fma_f64 v[6:7], v[0:1], v[4:5], s[18:19]
	s_mov_b32 s18, 0x6a5dcb37
	s_mov_b32 s19, 0x3e5ade15
	v_add_f64 v[6:7], v[6:7], s[16:17]
	s_mov_b32 s16, 0x9c773320
	s_mov_b32 s17, 0xbc82806c
	v_fma_f64 v[4:5], v[0:1], v[6:7], -v[4:5]
	v_add_f64 v[4:5], v[4:5], s[16:17]
	s_mov_b32 s16, 0xfceb588a
	s_mov_b32 s17, 0x3cb55915
	v_fma_f64 v[6:7], v[0:1], v[4:5], -v[6:7]
	;; [unrolled: 4-line block ×14, first 2 shown]
	v_add_f64 v[6:7], v[6:7], s[16:17]
	s_mov_b32 s16, 0x652b82fe
	s_mov_b32 s17, 0x3ff71547
	v_mul_f64 v[8:9], |v[2:3]|, s[16:17]
	s_mov_b32 s16, 0x5423dd80
	s_mov_b32 s17, 0xbe0334ca
	v_fma_f64 v[4:5], v[0:1], v[6:7], -v[4:5]
	v_rndne_f64_e32 v[8:9], v[8:9]
	v_add_f64 v[4:5], v[4:5], s[16:17]
	s_mov_b32 s16, 0xfefa39ef
	s_mov_b32 s17, 0xbfe62e42
	v_fma_f64 v[10:11], v[8:9], s[16:17], |v[2:3]|
	s_mov_b32 s16, 0x9ad53528
	s_mov_b32 s17, 0xbe30790b
	v_fma_f64 v[6:7], v[0:1], v[4:5], -v[6:7]
	v_add_f64 v[6:7], v[6:7], s[16:17]
	s_mov_b32 s16, 0x3b39803f
	s_mov_b32 s17, 0xbc7abc9e
	v_fma_f64 v[10:11], v[8:9], s[16:17], v[10:11]
	s_mov_b32 s16, 0xfca7ab0c
	s_mov_b32 s17, 0x3e928af3
	v_cvt_i32_f64_e32 v8, v[8:9]
	v_fma_f64 v[4:5], v[0:1], v[6:7], -v[4:5]
	v_fma_f64 v[12:13], v[10:11], s[18:19], s[16:17]
	s_mov_b32 s16, 0x94bb46c1
	s_mov_b32 s17, 0xbe5c4153
	v_add_f64 v[4:5], v[4:5], s[16:17]
	s_mov_b32 s16, 0x623fde64
	s_mov_b32 s17, 0x3ec71dee
	v_fma_f64 v[12:13], v[10:11], v[12:13], s[16:17]
	s_mov_b32 s16, 0x7c89e6b0
	s_mov_b32 s17, 0x3efa0199
	v_fma_f64 v[6:7], v[0:1], v[4:5], -v[6:7]
	v_fma_f64 v[12:13], v[10:11], v[12:13], s[16:17]
	s_mov_b32 s16, 0x2e9e5443
	s_mov_b32 s17, 0xbe90dbfd
	v_add_f64 v[6:7], v[6:7], s[16:17]
	s_mov_b32 s16, 0x14761f6e
	s_mov_b32 s17, 0x3f2a01a0
	v_fma_f64 v[12:13], v[10:11], v[12:13], s[16:17]
	s_mov_b32 s16, 0x1852b7b0
	s_mov_b32 s17, 0x3f56c16c
	;; [unrolled: 10-line block ×4, first 2 shown]
	v_fma_f64 v[4:5], v[0:1], v[6:7], -v[4:5]
	v_fma_f64 v[12:13], v[10:11], v[12:13], s[16:17]
	s_mov_b32 s16, 0x53fcdb4c
	s_mov_b32 s17, 0xbf83fda0
	v_add_f64 v[4:5], v[4:5], s[16:17]
	s_mov_b32 s16, 0xb55b1514
	s_mov_b32 s17, 0x3fe8ea18
	v_fma_f64 v[12:13], v[10:11], v[12:13], 1.0
	v_fma_f64 v[0:1], v[0:1], v[4:5], -v[6:7]
	v_fma_f64 v[4:5], v[10:11], v[12:13], 1.0
	v_add_f64 v[0:1], v[0:1], s[16:17]
	v_ldexp_f64 v[4:5], v[4:5], v8
	v_add_f64 v[6:7], v[0:1], -v[6:7]
                                        ; implicit-def: $vgpr0_vgpr1
	v_cndmask_b32_e32 v5, 0x7ff00000, v5, vcc_lo
	v_cndmask_b32_e32 v4, 0, v4, vcc_lo
	s_and_saveexec_b32 s16, s0
	s_xor_b32 s0, exec_lo, s16
	s_cbranch_execz .LBB8_20
; %bb.19:
	v_cmp_gt_f64_e64 s16, 0x10000000, |v[2:3]|
	v_mul_f64 v[6:7], v[6:7], 0.5
	v_cndmask_b32_e64 v0, 0, 0x100, s16
	v_mul_f64 v[4:5], v[4:5], v[6:7]
	v_ldexp_f64 v[0:1], |v[2:3]|, v0
	v_rsq_f64_e32 v[2:3], v[0:1]
	v_cmp_class_f64_e64 vcc_lo, v[0:1], 0x260
	v_mul_f64 v[8:9], v[0:1], v[2:3]
	v_mul_f64 v[2:3], v[2:3], 0.5
	v_fma_f64 v[10:11], -v[2:3], v[8:9], 0.5
	v_fma_f64 v[8:9], v[8:9], v[10:11], v[8:9]
	v_fma_f64 v[2:3], v[2:3], v[10:11], v[2:3]
	v_fma_f64 v[10:11], -v[8:9], v[8:9], v[0:1]
	v_fma_f64 v[8:9], v[10:11], v[2:3], v[8:9]
	v_fma_f64 v[10:11], -v[8:9], v[8:9], v[0:1]
	v_fma_f64 v[2:3], v[10:11], v[2:3], v[8:9]
	v_cndmask_b32_e64 v8, 0, 0xffffff80, s16
	v_ldexp_f64 v[2:3], v[2:3], v8
	v_cndmask_b32_e32 v1, v3, v1, vcc_lo
	v_cndmask_b32_e32 v0, v2, v0, vcc_lo
	v_div_scale_f64 v[2:3], null, v[0:1], v[0:1], v[4:5]
	v_rcp_f64_e32 v[6:7], v[2:3]
	v_fma_f64 v[8:9], -v[2:3], v[6:7], 1.0
	v_fma_f64 v[6:7], v[6:7], v[8:9], v[6:7]
	v_fma_f64 v[8:9], -v[2:3], v[6:7], 1.0
	v_fma_f64 v[6:7], v[6:7], v[8:9], v[6:7]
	v_div_scale_f64 v[8:9], vcc_lo, v[4:5], v[0:1], v[4:5]
	v_mul_f64 v[10:11], v[8:9], v[6:7]
	v_fma_f64 v[2:3], -v[2:3], v[10:11], v[8:9]
	v_div_fmas_f64 v[2:3], v[2:3], v[6:7], v[10:11]
                                        ; implicit-def: $vgpr6_vgpr7
	v_div_fixup_f64 v[0:1], v[2:3], v[0:1], v[4:5]
                                        ; implicit-def: $vgpr2_vgpr3
                                        ; implicit-def: $vgpr4_vgpr5
.LBB8_20:
	s_andn2_saveexec_b32 s0, s0
	s_cbranch_execz .LBB8_22
; %bb.21:
	v_cmp_gt_f64_e64 s16, 0x10000000, |v[2:3]|
	v_mul_f64 v[6:7], v[6:7], -0.5
	v_cndmask_b32_e64 v0, 0, 0x100, s16
	v_mul_f64 v[4:5], v[4:5], v[6:7]
	v_ldexp_f64 v[0:1], |v[2:3]|, v0
	v_rsq_f64_e32 v[2:3], v[0:1]
	v_cmp_class_f64_e64 vcc_lo, v[0:1], 0x260
	v_mul_f64 v[8:9], v[0:1], v[2:3]
	v_mul_f64 v[2:3], v[2:3], 0.5
	v_fma_f64 v[10:11], -v[2:3], v[8:9], 0.5
	v_fma_f64 v[8:9], v[8:9], v[10:11], v[8:9]
	v_fma_f64 v[2:3], v[2:3], v[10:11], v[2:3]
	v_fma_f64 v[10:11], -v[8:9], v[8:9], v[0:1]
	v_fma_f64 v[8:9], v[10:11], v[2:3], v[8:9]
	v_fma_f64 v[10:11], -v[8:9], v[8:9], v[0:1]
	v_fma_f64 v[2:3], v[10:11], v[2:3], v[8:9]
	v_cndmask_b32_e64 v8, 0, 0xffffff80, s16
	v_ldexp_f64 v[2:3], v[2:3], v8
	v_cndmask_b32_e32 v1, v3, v1, vcc_lo
	v_cndmask_b32_e32 v0, v2, v0, vcc_lo
	v_div_scale_f64 v[2:3], null, v[0:1], v[0:1], v[4:5]
	v_rcp_f64_e32 v[6:7], v[2:3]
	v_fma_f64 v[8:9], -v[2:3], v[6:7], 1.0
	v_fma_f64 v[6:7], v[6:7], v[8:9], v[6:7]
	v_fma_f64 v[8:9], -v[2:3], v[6:7], 1.0
	v_fma_f64 v[6:7], v[6:7], v[8:9], v[6:7]
	v_div_scale_f64 v[8:9], vcc_lo, v[4:5], v[0:1], v[4:5]
	v_mul_f64 v[10:11], v[8:9], v[6:7]
	v_fma_f64 v[2:3], -v[2:3], v[10:11], v[8:9]
	v_div_fmas_f64 v[2:3], v[2:3], v[6:7], v[10:11]
	v_div_fixup_f64 v[0:1], v[2:3], v[0:1], v[4:5]
.LBB8_22:
	s_or_b32 exec_lo, exec_lo, s0
.LBB8_23:
	s_or_b32 exec_lo, exec_lo, s7
	v_mul_lo_u32 v2, v14, s2
	s_and_b32 s7, s1, 0xff
	s_cmp_lt_i32 s7, 11
	v_ashrrev_i32_e32 v3, 31, v2
	v_add_co_u32 v4, vcc_lo, s8, v2
	v_add_co_ci_u32_e64 v5, null, s9, v3, vcc_lo
	s_cbranch_scc1 .LBB8_31
; %bb.24:
	s_and_b32 s16, 0xffff, s7
	s_cmp_gt_i32 s16, 25
	s_cbranch_scc0 .LBB8_34
; %bb.25:
	s_cmp_gt_i32 s16, 28
	s_cbranch_scc0 .LBB8_36
; %bb.26:
	;; [unrolled: 3-line block ×4, first 2 shown]
	s_mov_b32 s18, 0
	s_mov_b32 s0, -1
	s_cmp_eq_u32 s16, 46
	s_mov_b32 s17, 0
	s_cbranch_scc0 .LBB8_45
; %bb.29:
	v_cvt_f32_f64_e32 v2, v[0:1]
	s_mov_b32 s17, -1
	s_mov_b32 s0, 0
	v_bfe_u32 v3, v2, 16, 1
	v_cmp_o_f32_e32 vcc_lo, v2, v2
	v_add3_u32 v2, v2, v3, 0x7fff
	v_mov_b32_e32 v3, 0x7fc0
	v_cndmask_b32_sdwa v2, v3, v2, vcc_lo dst_sel:DWORD dst_unused:UNUSED_PAD src0_sel:DWORD src1_sel:WORD_1
	global_store_dword v[4:5], v2, off
	s_branch .LBB8_45
.LBB8_30:
                                        ; implicit-def: $vgpr2_vgpr3
	s_cbranch_execnz .LBB8_181
	s_branch .LBB8_213
.LBB8_31:
	s_mov_b32 s0, 0
	s_mov_b32 s17, 0
	s_cbranch_execnz .LBB8_114
.LBB8_32:
	s_andn2_b32 vcc_lo, exec_lo, s17
	s_cbranch_vccnz .LBB8_262
	s_branch .LBB8_152
.LBB8_33:
	s_mov_b32 s16, -1
                                        ; implicit-def: $vgpr2_vgpr3
	s_branch .LBB8_160
.LBB8_34:
	s_mov_b32 s18, -1
	s_mov_b32 s0, 0
	s_mov_b32 s17, 0
	s_branch .LBB8_72
.LBB8_35:
	s_mov_b32 s16, -1
                                        ; implicit-def: $vgpr2_vgpr3
	s_branch .LBB8_155
.LBB8_36:
	s_mov_b32 s18, -1
	s_mov_b32 s0, 0
	s_mov_b32 s17, 0
	s_branch .LBB8_55
.LBB8_37:
	s_mov_b32 s16, -1
	s_branch .LBB8_40
.LBB8_38:
	s_mov_b32 s18, -1
	s_mov_b32 s0, 0
	s_mov_b32 s17, 0
	s_branch .LBB8_51
.LBB8_39:
	s_mov_b32 s13, -1
.LBB8_40:
                                        ; implicit-def: $vgpr2_vgpr3
.LBB8_41:
	s_and_b32 vcc_lo, exec_lo, s16
	s_cbranch_vccz .LBB8_154
; %bb.42:
	s_cmp_eq_u32 s0, 44
	s_cbranch_scc0 .LBB8_153
; %bb.43:
	global_load_ubyte v4, v[0:1], off
	s_mov_b32 s13, 0
	s_mov_b32 s7, -1
	s_waitcnt vmcnt(0)
	v_lshlrev_b32_e32 v2, 23, v4
	v_cmp_ne_u32_e32 vcc_lo, 0xff, v4
	v_cvt_f64_f32_e32 v[2:3], v2
	v_cndmask_b32_e32 v2, 0x20000000, v2, vcc_lo
	v_cndmask_b32_e32 v3, 0x7ff80000, v3, vcc_lo
	v_cmp_ne_u32_e32 vcc_lo, 0, v4
	v_cndmask_b32_e32 v3, 0x38000000, v3, vcc_lo
	v_cndmask_b32_e32 v2, 0, v2, vcc_lo
	s_branch .LBB8_154
.LBB8_44:
	s_mov_b32 s18, -1
	s_mov_b32 s0, 0
	s_mov_b32 s17, 0
.LBB8_45:
	s_and_b32 vcc_lo, exec_lo, s18
	s_cbranch_vccz .LBB8_50
; %bb.46:
	s_cmp_eq_u32 s16, 44
	s_mov_b32 s0, -1
	s_cbranch_scc0 .LBB8_50
; %bb.47:
	v_cvt_f32_f64_e32 v2, v[0:1]
	v_mov_b32_e32 v3, 0xff
	s_mov_b32 s17, exec_lo
	v_bfe_u32 v6, v2, 23, 8
	v_cmpx_ne_u32_e32 0xff, v6
	s_cbranch_execz .LBB8_49
; %bb.48:
	v_and_b32_e32 v3, 0x400000, v2
	v_and_or_b32 v6, 0x3fffff, v2, v6
	v_lshrrev_b32_e32 v2, 23, v2
	v_cmp_ne_u32_e32 vcc_lo, 0, v3
	v_cmp_ne_u32_e64 s0, 0, v6
	s_and_b32 s0, vcc_lo, s0
	v_cndmask_b32_e64 v3, 0, 1, s0
	v_add_nc_u32_e32 v3, v2, v3
.LBB8_49:
	s_or_b32 exec_lo, exec_lo, s17
	s_mov_b32 s17, -1
	s_mov_b32 s0, 0
	global_store_byte v[4:5], v3, off
.LBB8_50:
	s_mov_b32 s18, 0
.LBB8_51:
	s_and_b32 vcc_lo, exec_lo, s18
	s_cbranch_vccz .LBB8_54
; %bb.52:
	s_cmp_eq_u32 s16, 29
	s_mov_b32 s0, -1
	s_cbranch_scc0 .LBB8_54
; %bb.53:
	v_trunc_f64_e32 v[2:3], v[0:1]
	s_mov_b32 s17, -1
	s_mov_b32 s0, 0
	s_mov_b32 s18, 0
	v_ldexp_f64 v[6:7], v[2:3], 0xffffffe0
	v_floor_f64_e32 v[6:7], v[6:7]
	v_fma_f64 v[2:3], 0xc1f00000, v[6:7], v[2:3]
	v_cvt_u32_f64_e32 v7, v[6:7]
	v_cvt_u32_f64_e32 v6, v[2:3]
	global_store_dwordx2 v[4:5], v[6:7], off
	s_branch .LBB8_55
.LBB8_54:
	s_mov_b32 s18, 0
.LBB8_55:
	s_and_b32 vcc_lo, exec_lo, s18
	s_cbranch_vccz .LBB8_71
; %bb.56:
	s_cmp_lt_i32 s16, 27
	s_mov_b32 s17, -1
	s_cbranch_scc1 .LBB8_62
; %bb.57:
	v_cvt_u32_f64_e32 v2, v[0:1]
	s_cmp_gt_i32 s16, 27
	s_cbranch_scc0 .LBB8_59
; %bb.58:
	s_mov_b32 s17, 0
	global_store_dword v[4:5], v2, off
.LBB8_59:
	s_andn2_b32 vcc_lo, exec_lo, s17
	s_cbranch_vccnz .LBB8_61
; %bb.60:
	global_store_short v[4:5], v2, off
.LBB8_61:
	s_mov_b32 s17, 0
.LBB8_62:
	s_andn2_b32 vcc_lo, exec_lo, s17
	s_cbranch_vccnz .LBB8_70
; %bb.63:
	v_cvt_f32_f64_e32 v2, v[0:1]
	v_mov_b32_e32 v6, 0x80
	s_mov_b32 s17, exec_lo
	v_and_b32_e32 v3, 0x7fffffff, v2
	v_cmpx_gt_u32_e32 0x43800000, v3
	s_cbranch_execz .LBB8_69
; %bb.64:
	v_cmp_lt_u32_e32 vcc_lo, 0x3bffffff, v3
	s_mov_b32 s18, 0
                                        ; implicit-def: $vgpr3
	s_and_saveexec_b32 s19, vcc_lo
	s_xor_b32 s19, exec_lo, s19
	s_cbranch_execz .LBB8_303
; %bb.65:
	v_bfe_u32 v3, v2, 20, 1
	s_mov_b32 s18, exec_lo
	v_add3_u32 v3, v2, v3, 0x487ffff
	v_lshrrev_b32_e32 v3, 20, v3
	s_andn2_saveexec_b32 s19, s19
	s_cbranch_execnz .LBB8_304
.LBB8_66:
	s_or_b32 exec_lo, exec_lo, s19
	v_mov_b32_e32 v6, 0
	s_and_saveexec_b32 s19, s18
.LBB8_67:
	v_lshrrev_b32_e32 v2, 24, v2
	v_and_or_b32 v6, 0x80, v2, v3
.LBB8_68:
	s_or_b32 exec_lo, exec_lo, s19
.LBB8_69:
	s_or_b32 exec_lo, exec_lo, s17
	global_store_byte v[4:5], v6, off
.LBB8_70:
	s_mov_b32 s17, -1
.LBB8_71:
	s_mov_b32 s18, 0
.LBB8_72:
	s_and_b32 vcc_lo, exec_lo, s18
	s_cbranch_vccz .LBB8_113
; %bb.73:
	s_cmp_gt_i32 s16, 22
	s_mov_b32 s18, -1
	s_cbranch_scc0 .LBB8_105
; %bb.74:
	s_cmp_lt_i32 s16, 24
	s_mov_b32 s17, -1
	s_cbranch_scc1 .LBB8_94
; %bb.75:
	s_cmp_gt_i32 s16, 24
	s_cbranch_scc0 .LBB8_83
; %bb.76:
	v_cvt_f32_f64_e32 v2, v[0:1]
	v_mov_b32_e32 v6, 0x80
	s_mov_b32 s17, exec_lo
	v_and_b32_e32 v3, 0x7fffffff, v2
	v_cmpx_gt_u32_e32 0x47800000, v3
	s_cbranch_execz .LBB8_82
; %bb.77:
	v_cmp_lt_u32_e32 vcc_lo, 0x37ffffff, v3
	s_mov_b32 s18, 0
                                        ; implicit-def: $vgpr3
	s_and_saveexec_b32 s19, vcc_lo
	s_xor_b32 s19, exec_lo, s19
	s_cbranch_execz .LBB8_307
; %bb.78:
	v_bfe_u32 v3, v2, 21, 1
	s_mov_b32 s18, exec_lo
	v_add3_u32 v3, v2, v3, 0x88fffff
	v_lshrrev_b32_e32 v3, 21, v3
	s_andn2_saveexec_b32 s19, s19
	s_cbranch_execnz .LBB8_308
.LBB8_79:
	s_or_b32 exec_lo, exec_lo, s19
	v_mov_b32_e32 v6, 0
	s_and_saveexec_b32 s19, s18
.LBB8_80:
	v_lshrrev_b32_e32 v2, 24, v2
	v_and_or_b32 v6, 0x80, v2, v3
.LBB8_81:
	s_or_b32 exec_lo, exec_lo, s19
.LBB8_82:
	s_or_b32 exec_lo, exec_lo, s17
	s_mov_b32 s17, 0
	global_store_byte v[4:5], v6, off
.LBB8_83:
	s_and_b32 vcc_lo, exec_lo, s17
	s_cbranch_vccz .LBB8_93
; %bb.84:
	v_cvt_f32_f64_e32 v2, v[0:1]
	s_mov_b32 s17, exec_lo
                                        ; implicit-def: $vgpr3
	v_and_b32_e32 v6, 0x7fffffff, v2
	v_cmpx_gt_u32_e32 0x43f00000, v6
	s_xor_b32 s17, exec_lo, s17
	s_cbranch_execz .LBB8_90
; %bb.85:
	s_mov_b32 s18, exec_lo
                                        ; implicit-def: $vgpr3
	v_cmpx_lt_u32_e32 0x3c7fffff, v6
	s_xor_b32 s18, exec_lo, s18
; %bb.86:
	v_bfe_u32 v3, v2, 20, 1
	v_add3_u32 v3, v2, v3, 0x407ffff
	v_and_b32_e32 v6, 0xff00000, v3
	v_lshrrev_b32_e32 v3, 20, v3
	v_cmp_ne_u32_e32 vcc_lo, 0x7f00000, v6
	v_cndmask_b32_e32 v3, 0x7e, v3, vcc_lo
; %bb.87:
	s_andn2_saveexec_b32 s18, s18
; %bb.88:
	v_add_f32_e64 v3, 0x46800000, |v2|
; %bb.89:
	s_or_b32 exec_lo, exec_lo, s18
                                        ; implicit-def: $vgpr6
.LBB8_90:
	s_andn2_saveexec_b32 s17, s17
; %bb.91:
	v_mov_b32_e32 v3, 0x7f
	v_cmp_lt_u32_e32 vcc_lo, 0x7f800000, v6
	v_cndmask_b32_e32 v3, 0x7e, v3, vcc_lo
; %bb.92:
	s_or_b32 exec_lo, exec_lo, s17
	v_lshrrev_b32_e32 v2, 24, v2
	v_and_or_b32 v2, 0x80, v2, v3
	global_store_byte v[4:5], v2, off
.LBB8_93:
	s_mov_b32 s17, 0
.LBB8_94:
	s_andn2_b32 vcc_lo, exec_lo, s17
	s_cbranch_vccnz .LBB8_104
; %bb.95:
	v_cvt_f32_f64_e32 v2, v[0:1]
	s_mov_b32 s17, exec_lo
                                        ; implicit-def: $vgpr3
	v_and_b32_e32 v6, 0x7fffffff, v2
	v_cmpx_gt_u32_e32 0x47800000, v6
	s_xor_b32 s17, exec_lo, s17
	s_cbranch_execz .LBB8_101
; %bb.96:
	s_mov_b32 s18, exec_lo
                                        ; implicit-def: $vgpr3
	v_cmpx_lt_u32_e32 0x387fffff, v6
	s_xor_b32 s18, exec_lo, s18
; %bb.97:
	v_bfe_u32 v3, v2, 21, 1
	v_add3_u32 v3, v2, v3, 0x80fffff
	v_lshrrev_b32_e32 v3, 21, v3
; %bb.98:
	s_andn2_saveexec_b32 s18, s18
; %bb.99:
	v_add_f32_e64 v3, 0x43000000, |v2|
; %bb.100:
	s_or_b32 exec_lo, exec_lo, s18
                                        ; implicit-def: $vgpr6
.LBB8_101:
	s_andn2_saveexec_b32 s17, s17
; %bb.102:
	v_mov_b32_e32 v3, 0x7f
	v_cmp_lt_u32_e32 vcc_lo, 0x7f800000, v6
	v_cndmask_b32_e32 v3, 0x7c, v3, vcc_lo
; %bb.103:
	s_or_b32 exec_lo, exec_lo, s17
	v_lshrrev_b32_e32 v2, 24, v2
	v_and_or_b32 v2, 0x80, v2, v3
	global_store_byte v[4:5], v2, off
.LBB8_104:
	s_mov_b32 s18, 0
	s_mov_b32 s17, -1
.LBB8_105:
	s_andn2_b32 vcc_lo, exec_lo, s18
	s_cbranch_vccnz .LBB8_113
; %bb.106:
	s_cmp_gt_i32 s16, 14
	s_mov_b32 s18, -1
	s_cbranch_scc0 .LBB8_110
; %bb.107:
	s_cmp_eq_u32 s16, 15
	s_mov_b32 s0, -1
	s_cbranch_scc0 .LBB8_109
; %bb.108:
	v_cvt_f32_f64_e32 v2, v[0:1]
	s_mov_b32 s17, -1
	s_mov_b32 s0, 0
	v_bfe_u32 v3, v2, 16, 1
	v_cmp_o_f32_e32 vcc_lo, v2, v2
	v_add3_u32 v2, v2, v3, 0x7fff
	v_mov_b32_e32 v3, 0x7fc0
	v_cndmask_b32_sdwa v2, v3, v2, vcc_lo dst_sel:DWORD dst_unused:UNUSED_PAD src0_sel:DWORD src1_sel:WORD_1
	global_store_short v[4:5], v2, off
.LBB8_109:
	s_mov_b32 s18, 0
.LBB8_110:
	s_and_b32 vcc_lo, exec_lo, s18
	s_cbranch_vccz .LBB8_113
; %bb.111:
	s_cmp_eq_u32 s16, 11
	s_mov_b32 s0, -1
	s_cbranch_scc0 .LBB8_113
; %bb.112:
	v_cmp_neq_f64_e32 vcc_lo, 0, v[0:1]
	s_mov_b32 s17, -1
	s_mov_b32 s0, 0
	v_cndmask_b32_e64 v2, 0, 1, vcc_lo
	global_store_byte v[4:5], v2, off
.LBB8_113:
	s_branch .LBB8_32
.LBB8_114:
	s_and_b32 s7, 0xffff, s7
	s_mov_b32 s16, -1
	s_cmp_lt_i32 s7, 5
	s_cbranch_scc1 .LBB8_135
; %bb.115:
	s_cmp_lt_i32 s7, 8
	s_cbranch_scc1 .LBB8_125
; %bb.116:
	;; [unrolled: 3-line block ×3, first 2 shown]
	s_cmp_gt_i32 s7, 9
	s_cbranch_scc0 .LBB8_119
; %bb.118:
	v_mov_b32_e32 v2, 0
	s_mov_b32 s16, 0
	v_mov_b32_e32 v3, v2
	global_store_dwordx4 v[4:5], v[0:3], off
.LBB8_119:
	s_andn2_b32 vcc_lo, exec_lo, s16
	s_cbranch_vccnz .LBB8_121
; %bb.120:
	v_cvt_f32_f64_e32 v2, v[0:1]
	v_mov_b32_e32 v3, 0
	global_store_dwordx2 v[4:5], v[2:3], off
.LBB8_121:
	s_mov_b32 s16, 0
.LBB8_122:
	s_andn2_b32 vcc_lo, exec_lo, s16
	s_cbranch_vccnz .LBB8_124
; %bb.123:
	v_and_or_b32 v2, 0x1ff, v1, v0
	v_lshrrev_b32_e32 v3, 8, v1
	v_bfe_u32 v6, v1, 20, 11
	v_cmp_ne_u32_e32 vcc_lo, 0, v2
	v_sub_nc_u32_e32 v7, 0x3f1, v6
	v_add_nc_u32_e32 v6, 0xfffffc10, v6
	v_cndmask_b32_e64 v2, 0, 1, vcc_lo
	v_and_or_b32 v2, 0xffe, v3, v2
	v_med3_i32 v3, v7, 0, 13
	v_or_b32_e32 v7, 0x1000, v2
	v_lshrrev_b32_e32 v8, v3, v7
	v_lshlrev_b32_e32 v3, v3, v8
	v_cmp_ne_u32_e32 vcc_lo, v3, v7
	v_lshl_or_b32 v7, v6, 12, v2
	v_cndmask_b32_e64 v3, 0, 1, vcc_lo
	v_cmp_gt_i32_e32 vcc_lo, 1, v6
	v_or_b32_e32 v3, v8, v3
	v_cndmask_b32_e32 v3, v7, v3, vcc_lo
	v_and_b32_e32 v7, 7, v3
	v_lshrrev_b32_e32 v3, 2, v3
	v_cmp_lt_i32_e32 vcc_lo, 5, v7
	v_cndmask_b32_e64 v8, 0, 1, vcc_lo
	v_cmp_eq_u32_e32 vcc_lo, 3, v7
	v_cndmask_b32_e64 v7, 0, 1, vcc_lo
	v_cmp_ne_u32_e32 vcc_lo, 0, v2
	v_or_b32_e32 v7, v7, v8
	v_mov_b32_e32 v8, 0x7e00
	v_add_nc_u32_e32 v3, v3, v7
	v_cndmask_b32_e32 v2, 0x7c00, v8, vcc_lo
	v_cmp_gt_i32_e32 vcc_lo, 31, v6
	v_cndmask_b32_e32 v3, 0x7c00, v3, vcc_lo
	v_cmp_eq_u32_e32 vcc_lo, 0x40f, v6
	v_cndmask_b32_e32 v2, v3, v2, vcc_lo
	v_lshrrev_b32_e32 v3, 16, v1
	v_and_or_b32 v2, 0x8000, v3, v2
	v_and_b32_e32 v2, 0xffff, v2
	global_store_dword v[4:5], v2, off
.LBB8_124:
	s_mov_b32 s16, 0
.LBB8_125:
	s_andn2_b32 vcc_lo, exec_lo, s16
	s_cbranch_vccnz .LBB8_134
; %bb.126:
	s_cmp_lt_i32 s7, 6
	s_mov_b32 s16, -1
	s_cbranch_scc1 .LBB8_132
; %bb.127:
	s_cmp_gt_i32 s7, 6
	s_cbranch_scc0 .LBB8_129
; %bb.128:
	s_mov_b32 s16, 0
	global_store_dwordx2 v[4:5], v[0:1], off
.LBB8_129:
	s_andn2_b32 vcc_lo, exec_lo, s16
	s_cbranch_vccnz .LBB8_131
; %bb.130:
	v_cvt_f32_f64_e32 v2, v[0:1]
	global_store_dword v[4:5], v2, off
.LBB8_131:
	s_mov_b32 s16, 0
.LBB8_132:
	s_andn2_b32 vcc_lo, exec_lo, s16
	s_cbranch_vccnz .LBB8_134
; %bb.133:
	v_and_or_b32 v2, 0x1ff, v1, v0
	v_lshrrev_b32_e32 v3, 8, v1
	v_bfe_u32 v6, v1, 20, 11
	v_cmp_ne_u32_e32 vcc_lo, 0, v2
	v_sub_nc_u32_e32 v7, 0x3f1, v6
	v_add_nc_u32_e32 v6, 0xfffffc10, v6
	v_cndmask_b32_e64 v2, 0, 1, vcc_lo
	v_and_or_b32 v2, 0xffe, v3, v2
	v_med3_i32 v3, v7, 0, 13
	v_or_b32_e32 v7, 0x1000, v2
	v_lshrrev_b32_e32 v8, v3, v7
	v_lshlrev_b32_e32 v3, v3, v8
	v_cmp_ne_u32_e32 vcc_lo, v3, v7
	v_lshl_or_b32 v7, v6, 12, v2
	v_cndmask_b32_e64 v3, 0, 1, vcc_lo
	v_cmp_gt_i32_e32 vcc_lo, 1, v6
	v_or_b32_e32 v3, v8, v3
	v_cndmask_b32_e32 v3, v7, v3, vcc_lo
	v_and_b32_e32 v7, 7, v3
	v_lshrrev_b32_e32 v3, 2, v3
	v_cmp_lt_i32_e32 vcc_lo, 5, v7
	v_cndmask_b32_e64 v8, 0, 1, vcc_lo
	v_cmp_eq_u32_e32 vcc_lo, 3, v7
	v_cndmask_b32_e64 v7, 0, 1, vcc_lo
	v_cmp_ne_u32_e32 vcc_lo, 0, v2
	v_or_b32_e32 v7, v7, v8
	v_mov_b32_e32 v8, 0x7e00
	v_add_nc_u32_e32 v3, v3, v7
	v_cndmask_b32_e32 v2, 0x7c00, v8, vcc_lo
	v_cmp_gt_i32_e32 vcc_lo, 31, v6
	v_cndmask_b32_e32 v3, 0x7c00, v3, vcc_lo
	v_cmp_eq_u32_e32 vcc_lo, 0x40f, v6
	v_cndmask_b32_e32 v2, v3, v2, vcc_lo
	v_lshrrev_b32_e32 v3, 16, v1
	v_and_or_b32 v2, 0x8000, v3, v2
	global_store_short v[4:5], v2, off
.LBB8_134:
	s_mov_b32 s16, 0
.LBB8_135:
	s_andn2_b32 vcc_lo, exec_lo, s16
	s_cbranch_vccnz .LBB8_151
; %bb.136:
	s_cmp_lt_i32 s7, 2
	s_mov_b32 s16, -1
	s_cbranch_scc1 .LBB8_146
; %bb.137:
	s_cmp_lt_i32 s7, 3
	s_cbranch_scc1 .LBB8_143
; %bb.138:
	s_cmp_gt_i32 s7, 3
	s_cbranch_scc0 .LBB8_140
; %bb.139:
	v_trunc_f64_e32 v[2:3], v[0:1]
	s_mov_b32 s16, 0
	v_ldexp_f64 v[6:7], v[2:3], 0xffffffe0
	v_floor_f64_e32 v[6:7], v[6:7]
	v_fma_f64 v[2:3], 0xc1f00000, v[6:7], v[2:3]
	v_cvt_i32_f64_e32 v7, v[6:7]
	v_cvt_u32_f64_e32 v6, v[2:3]
	global_store_dwordx2 v[4:5], v[6:7], off
.LBB8_140:
	s_andn2_b32 vcc_lo, exec_lo, s16
	s_cbranch_vccnz .LBB8_142
; %bb.141:
	v_cvt_i32_f64_e32 v2, v[0:1]
	global_store_dword v[4:5], v2, off
.LBB8_142:
	s_mov_b32 s16, 0
.LBB8_143:
	s_andn2_b32 vcc_lo, exec_lo, s16
	s_cbranch_vccnz .LBB8_145
; %bb.144:
	v_cvt_i32_f64_e32 v2, v[0:1]
	global_store_short v[4:5], v2, off
.LBB8_145:
	s_mov_b32 s16, 0
.LBB8_146:
	s_andn2_b32 vcc_lo, exec_lo, s16
	s_cbranch_vccnz .LBB8_151
; %bb.147:
	s_cmp_gt_i32 s7, 0
	s_mov_b32 s7, -1
	s_cbranch_scc0 .LBB8_149
; %bb.148:
	v_cvt_i32_f64_e32 v2, v[0:1]
	s_mov_b32 s7, 0
	global_store_byte v[4:5], v2, off
.LBB8_149:
	s_andn2_b32 vcc_lo, exec_lo, s7
	s_cbranch_vccnz .LBB8_151
; %bb.150:
	v_trunc_f64_e32 v[0:1], v[0:1]
	v_ldexp_f64 v[2:3], v[0:1], 0xffffffe0
	v_floor_f64_e32 v[2:3], v[2:3]
	v_fma_f64 v[0:1], 0xc1f00000, v[2:3], v[0:1]
	v_cvt_u32_f64_e32 v0, v[0:1]
	global_store_byte v[4:5], v0, off
.LBB8_151:
.LBB8_152:
	v_add_nc_u32_e32 v14, 0x80, v14
	s_mov_b32 s16, -1
	s_branch .LBB8_263
.LBB8_153:
	s_mov_b32 s13, -1
                                        ; implicit-def: $vgpr2_vgpr3
.LBB8_154:
	s_mov_b32 s16, 0
.LBB8_155:
	s_and_b32 vcc_lo, exec_lo, s16
	s_cbranch_vccz .LBB8_159
; %bb.156:
	s_cmp_eq_u32 s0, 29
	s_cbranch_scc0 .LBB8_158
; %bb.157:
	global_load_dwordx2 v[2:3], v[0:1], off
	s_mov_b32 s7, -1
	s_mov_b32 s13, 0
	s_mov_b32 s16, 0
	s_waitcnt vmcnt(0)
	v_cvt_f64_u32_e32 v[3:4], v3
	v_cvt_f64_u32_e32 v[5:6], v2
	v_ldexp_f64 v[3:4], v[3:4], 32
	v_add_f64 v[2:3], v[3:4], v[5:6]
	s_branch .LBB8_160
.LBB8_158:
	s_mov_b32 s13, -1
                                        ; implicit-def: $vgpr2_vgpr3
.LBB8_159:
	s_mov_b32 s16, 0
.LBB8_160:
	s_and_b32 vcc_lo, exec_lo, s16
	s_cbranch_vccz .LBB8_180
; %bb.161:
	s_cmp_lt_i32 s0, 27
	s_cbranch_scc1 .LBB8_164
; %bb.162:
	s_cmp_gt_i32 s0, 27
	s_cbranch_scc0 .LBB8_165
; %bb.163:
	global_load_dword v2, v[0:1], off
	s_mov_b32 s7, 0
	s_waitcnt vmcnt(0)
	v_cvt_f64_u32_e32 v[2:3], v2
	s_branch .LBB8_166
.LBB8_164:
	s_mov_b32 s7, -1
                                        ; implicit-def: $vgpr2_vgpr3
	s_branch .LBB8_169
.LBB8_165:
	s_mov_b32 s7, -1
                                        ; implicit-def: $vgpr2_vgpr3
.LBB8_166:
	s_andn2_b32 vcc_lo, exec_lo, s7
	s_cbranch_vccnz .LBB8_168
; %bb.167:
	global_load_ushort v2, v[0:1], off
	s_waitcnt vmcnt(0)
	v_cvt_f64_u32_e32 v[2:3], v2
.LBB8_168:
	s_mov_b32 s7, 0
.LBB8_169:
	s_andn2_b32 vcc_lo, exec_lo, s7
	s_cbranch_vccnz .LBB8_179
; %bb.170:
	global_load_ubyte v4, v[0:1], off
	s_mov_b32 s7, 0
	s_mov_b32 s16, exec_lo
	s_waitcnt vmcnt(0)
	v_cmpx_lt_i16_e32 0x7f, v4
	s_xor_b32 s16, exec_lo, s16
	s_cbranch_execz .LBB8_174
; %bb.171:
	s_mov_b32 s7, -1
	s_mov_b32 s17, exec_lo
	v_cmpx_eq_u16_e32 0x80, v4
; %bb.172:
	s_xor_b32 s7, exec_lo, -1
; %bb.173:
	s_or_b32 exec_lo, exec_lo, s17
	s_and_b32 s7, s7, exec_lo
.LBB8_174:
	s_or_saveexec_b32 s16, s16
	v_bfrev_b32_e32 v2, 4
	v_mov_b32_e32 v3, 0x7ff80000
	s_xor_b32 exec_lo, exec_lo, s16
; %bb.175:
	v_cmp_ne_u16_e32 vcc_lo, 0, v4
	v_mov_b32_e32 v2, 0
	v_mov_b32_e32 v3, 0
	s_andn2_b32 s7, s7, exec_lo
	s_and_b32 s17, vcc_lo, exec_lo
	s_or_b32 s7, s7, s17
; %bb.176:
	s_or_b32 exec_lo, exec_lo, s16
	s_and_saveexec_b32 s16, s7
	s_cbranch_execz .LBB8_178
; %bb.177:
	v_and_b32_e32 v2, 0xffff, v4
	v_lshlrev_b32_e32 v4, 24, v4
	v_and_b32_e32 v3, 7, v2
	v_bfe_u32 v7, v2, 3, 4
	v_ffbh_u32_e32 v5, v3
	v_cmp_eq_u32_e32 vcc_lo, 0, v7
	v_min_u32_e32 v5, 32, v5
	v_subrev_nc_u32_e32 v6, 28, v5
	v_sub_nc_u32_e32 v5, 29, v5
	v_lshlrev_b32_e32 v2, v6, v2
	v_cndmask_b32_e32 v5, v7, v5, vcc_lo
	v_and_b32_e32 v2, 7, v2
	v_cndmask_b32_e32 v2, v3, v2, vcc_lo
	v_and_b32_e32 v3, 0x80000000, v4
	v_lshl_add_u32 v4, v5, 23, 0x3b800000
	v_lshlrev_b32_e32 v2, 20, v2
	v_or3_b32 v2, v3, v4, v2
	v_cvt_f64_f32_e32 v[2:3], v2
.LBB8_178:
	s_or_b32 exec_lo, exec_lo, s16
.LBB8_179:
	s_mov_b32 s7, -1
.LBB8_180:
	s_branch .LBB8_213
.LBB8_181:
	s_cmp_gt_i32 s0, 22
	s_cbranch_scc0 .LBB8_193
; %bb.182:
	s_cmp_lt_i32 s0, 24
	s_cbranch_scc1 .LBB8_194
; %bb.183:
	s_cmp_gt_i32 s0, 24
	s_cbranch_scc0 .LBB8_195
; %bb.184:
	global_load_ubyte v4, v[0:1], off
	s_mov_b32 s7, 0
	s_mov_b32 s16, exec_lo
	s_waitcnt vmcnt(0)
	v_cmpx_lt_i16_e32 0x7f, v4
	s_xor_b32 s16, exec_lo, s16
	s_cbranch_execz .LBB8_188
; %bb.185:
	s_mov_b32 s7, -1
	s_mov_b32 s17, exec_lo
	v_cmpx_eq_u16_e32 0x80, v4
; %bb.186:
	s_xor_b32 s7, exec_lo, -1
; %bb.187:
	s_or_b32 exec_lo, exec_lo, s17
	s_and_b32 s7, s7, exec_lo
.LBB8_188:
	s_or_saveexec_b32 s16, s16
	v_bfrev_b32_e32 v2, 4
	v_mov_b32_e32 v3, 0x7ff80000
	s_xor_b32 exec_lo, exec_lo, s16
; %bb.189:
	v_cmp_ne_u16_e32 vcc_lo, 0, v4
	v_mov_b32_e32 v2, 0
	v_mov_b32_e32 v3, 0
	s_andn2_b32 s7, s7, exec_lo
	s_and_b32 s17, vcc_lo, exec_lo
	s_or_b32 s7, s7, s17
; %bb.190:
	s_or_b32 exec_lo, exec_lo, s16
	s_and_saveexec_b32 s16, s7
	s_cbranch_execz .LBB8_192
; %bb.191:
	v_and_b32_e32 v2, 0xffff, v4
	v_lshlrev_b32_e32 v4, 24, v4
	v_and_b32_e32 v3, 3, v2
	v_bfe_u32 v7, v2, 2, 5
	v_ffbh_u32_e32 v5, v3
	v_cmp_eq_u32_e32 vcc_lo, 0, v7
	v_min_u32_e32 v5, 32, v5
	v_subrev_nc_u32_e32 v6, 29, v5
	v_sub_nc_u32_e32 v5, 30, v5
	v_lshlrev_b32_e32 v2, v6, v2
	v_cndmask_b32_e32 v5, v7, v5, vcc_lo
	v_and_b32_e32 v2, 3, v2
	v_cndmask_b32_e32 v2, v3, v2, vcc_lo
	v_and_b32_e32 v3, 0x80000000, v4
	v_lshl_add_u32 v4, v5, 23, 0x37800000
	v_lshlrev_b32_e32 v2, 21, v2
	v_or3_b32 v2, v3, v4, v2
	v_cvt_f64_f32_e32 v[2:3], v2
.LBB8_192:
	s_or_b32 exec_lo, exec_lo, s16
	s_mov_b32 s7, 0
	s_branch .LBB8_196
.LBB8_193:
	s_mov_b32 s16, -1
                                        ; implicit-def: $vgpr2_vgpr3
	s_branch .LBB8_202
.LBB8_194:
	s_mov_b32 s7, -1
                                        ; implicit-def: $vgpr2_vgpr3
	s_branch .LBB8_199
.LBB8_195:
	s_mov_b32 s7, -1
                                        ; implicit-def: $vgpr2_vgpr3
.LBB8_196:
	s_and_b32 vcc_lo, exec_lo, s7
	s_cbranch_vccz .LBB8_198
; %bb.197:
	global_load_ubyte v2, v[0:1], off
	s_waitcnt vmcnt(0)
	v_lshlrev_b32_e32 v2, 24, v2
	v_and_b32_e32 v3, 0x7f000000, v2
	v_ffbh_u32_e32 v4, v3
	v_add_nc_u32_e32 v6, 0x1000000, v3
	v_cmp_ne_u32_e32 vcc_lo, 0, v3
	v_min_u32_e32 v4, 32, v4
	v_sub_nc_u32_e64 v4, v4, 4 clamp
	v_lshlrev_b32_e32 v5, v4, v3
	v_lshlrev_b32_e32 v4, 23, v4
	v_lshrrev_b32_e32 v5, 4, v5
	v_sub_nc_u32_e32 v4, v5, v4
	v_ashrrev_i32_e32 v5, 8, v6
	v_add_nc_u32_e32 v4, 0x3c000000, v4
	v_and_or_b32 v4, 0x7f800000, v5, v4
	v_cndmask_b32_e32 v3, 0, v4, vcc_lo
	v_and_or_b32 v2, 0x80000000, v2, v3
	v_cvt_f64_f32_e32 v[2:3], v2
.LBB8_198:
	s_mov_b32 s7, 0
.LBB8_199:
	s_andn2_b32 vcc_lo, exec_lo, s7
	s_cbranch_vccnz .LBB8_201
; %bb.200:
	global_load_ubyte v2, v[0:1], off
	s_waitcnt vmcnt(0)
	v_lshlrev_b32_e32 v3, 25, v2
	v_lshlrev_b16 v2, 8, v2
	v_lshrrev_b32_e32 v4, 4, v3
	v_and_or_b32 v5, 0x7f00, v2, 0.5
	v_cmp_gt_u32_e32 vcc_lo, 0x8000000, v3
	v_bfe_i32 v2, v2, 0, 16
	v_or_b32_e32 v4, 0x70000000, v4
	v_add_f32_e32 v5, -0.5, v5
	v_mul_f32_e32 v4, 0x7800000, v4
	v_cndmask_b32_e32 v3, v4, v5, vcc_lo
	v_and_or_b32 v2, 0x80000000, v2, v3
	v_cvt_f64_f32_e32 v[2:3], v2
.LBB8_201:
	s_mov_b32 s16, 0
	s_mov_b32 s7, -1
.LBB8_202:
	s_andn2_b32 vcc_lo, exec_lo, s16
	s_cbranch_vccnz .LBB8_213
; %bb.203:
	s_cmp_gt_i32 s0, 14
	s_cbranch_scc0 .LBB8_206
; %bb.204:
	s_cmp_eq_u32 s0, 15
	s_cbranch_scc0 .LBB8_207
; %bb.205:
	global_load_ushort v2, v[0:1], off
	s_mov_b32 s7, -1
	s_mov_b32 s13, 0
	s_waitcnt vmcnt(0)
	v_lshlrev_b32_e32 v2, 16, v2
	v_cvt_f64_f32_e32 v[2:3], v2
	s_branch .LBB8_208
.LBB8_206:
	s_mov_b32 s16, -1
                                        ; implicit-def: $vgpr2_vgpr3
	s_branch .LBB8_209
.LBB8_207:
	s_mov_b32 s13, -1
                                        ; implicit-def: $vgpr2_vgpr3
.LBB8_208:
	s_mov_b32 s16, 0
.LBB8_209:
	s_and_b32 vcc_lo, exec_lo, s16
	s_cbranch_vccz .LBB8_213
; %bb.210:
	s_cmp_eq_u32 s0, 11
	s_cbranch_scc0 .LBB8_212
; %bb.211:
	global_load_ubyte v2, v[0:1], off
	s_mov_b32 s13, 0
	s_mov_b32 s7, -1
	s_waitcnt vmcnt(0)
	v_cmp_ne_u16_e32 vcc_lo, 0, v2
	v_mov_b32_e32 v2, 0
	v_cndmask_b32_e64 v3, 0, 0x3ff00000, vcc_lo
	s_branch .LBB8_213
.LBB8_212:
	s_mov_b32 s13, -1
                                        ; implicit-def: $vgpr2_vgpr3
.LBB8_213:
	s_branch .LBB8_10
.LBB8_214:
	s_cmp_lt_i32 s0, 5
	s_cbranch_scc1 .LBB8_219
; %bb.215:
	s_cmp_lt_i32 s0, 8
	s_cbranch_scc1 .LBB8_220
; %bb.216:
	;; [unrolled: 3-line block ×3, first 2 shown]
	s_cmp_gt_i32 s0, 9
	s_cbranch_scc0 .LBB8_222
; %bb.218:
	global_load_dwordx2 v[2:3], v[0:1], off
	s_mov_b32 s7, 0
	s_branch .LBB8_223
.LBB8_219:
                                        ; implicit-def: $vgpr2_vgpr3
	s_branch .LBB8_241
.LBB8_220:
	s_mov_b32 s7, -1
                                        ; implicit-def: $vgpr2_vgpr3
	s_branch .LBB8_229
.LBB8_221:
	s_mov_b32 s7, -1
                                        ; implicit-def: $vgpr2_vgpr3
	s_branch .LBB8_226
.LBB8_222:
	s_mov_b32 s7, -1
                                        ; implicit-def: $vgpr2_vgpr3
.LBB8_223:
	s_andn2_b32 vcc_lo, exec_lo, s7
	s_cbranch_vccnz .LBB8_225
; %bb.224:
	global_load_dword v2, v[0:1], off
	s_waitcnt vmcnt(0)
	v_cvt_f64_f32_e32 v[2:3], v2
.LBB8_225:
	s_mov_b32 s7, 0
.LBB8_226:
	s_andn2_b32 vcc_lo, exec_lo, s7
	s_cbranch_vccnz .LBB8_228
; %bb.227:
	global_load_dword v2, v[0:1], off
	s_waitcnt vmcnt(0)
	v_cvt_f32_f16_e32 v2, v2
	v_cvt_f64_f32_e32 v[2:3], v2
.LBB8_228:
	s_mov_b32 s7, 0
.LBB8_229:
	s_andn2_b32 vcc_lo, exec_lo, s7
	s_cbranch_vccnz .LBB8_240
; %bb.230:
	s_cmp_lt_i32 s0, 6
	s_cbranch_scc1 .LBB8_233
; %bb.231:
	s_cmp_gt_i32 s0, 6
	s_cbranch_scc0 .LBB8_234
; %bb.232:
	global_load_dwordx2 v[2:3], v[0:1], off
	s_mov_b32 s7, 0
	s_branch .LBB8_235
.LBB8_233:
	s_mov_b32 s7, -1
                                        ; implicit-def: $vgpr2_vgpr3
	s_branch .LBB8_238
.LBB8_234:
	s_mov_b32 s7, -1
                                        ; implicit-def: $vgpr2_vgpr3
.LBB8_235:
	s_andn2_b32 vcc_lo, exec_lo, s7
	s_cbranch_vccnz .LBB8_237
; %bb.236:
	global_load_dword v2, v[0:1], off
	s_waitcnt vmcnt(0)
	v_cvt_f64_f32_e32 v[2:3], v2
.LBB8_237:
	s_mov_b32 s7, 0
.LBB8_238:
	s_andn2_b32 vcc_lo, exec_lo, s7
	s_cbranch_vccnz .LBB8_240
; %bb.239:
	global_load_ushort v2, v[0:1], off
	s_waitcnt vmcnt(0)
	v_cvt_f32_f16_e32 v2, v2
	v_cvt_f64_f32_e32 v[2:3], v2
.LBB8_240:
	s_cbranch_execnz .LBB8_260
.LBB8_241:
	s_cmp_lt_i32 s0, 2
	s_cbranch_scc1 .LBB8_245
; %bb.242:
	s_cmp_lt_i32 s0, 3
	s_cbranch_scc1 .LBB8_246
; %bb.243:
	s_cmp_gt_i32 s0, 3
	s_cbranch_scc0 .LBB8_247
; %bb.244:
	global_load_dwordx2 v[2:3], v[0:1], off
	s_mov_b32 s7, 0
	s_waitcnt vmcnt(0)
	v_cvt_f64_i32_e32 v[3:4], v3
	v_cvt_f64_u32_e32 v[5:6], v2
	v_ldexp_f64 v[3:4], v[3:4], 32
	v_add_f64 v[2:3], v[3:4], v[5:6]
	s_branch .LBB8_248
.LBB8_245:
	s_mov_b32 s7, -1
                                        ; implicit-def: $vgpr2_vgpr3
	s_branch .LBB8_254
.LBB8_246:
	s_mov_b32 s7, -1
                                        ; implicit-def: $vgpr2_vgpr3
	s_branch .LBB8_251
.LBB8_247:
	s_mov_b32 s7, -1
                                        ; implicit-def: $vgpr2_vgpr3
.LBB8_248:
	s_andn2_b32 vcc_lo, exec_lo, s7
	s_cbranch_vccnz .LBB8_250
; %bb.249:
	global_load_dword v2, v[0:1], off
	s_waitcnt vmcnt(0)
	v_cvt_f64_i32_e32 v[2:3], v2
.LBB8_250:
	s_mov_b32 s7, 0
.LBB8_251:
	s_andn2_b32 vcc_lo, exec_lo, s7
	s_cbranch_vccnz .LBB8_253
; %bb.252:
	global_load_sshort v2, v[0:1], off
	s_waitcnt vmcnt(0)
	v_cvt_f64_i32_e32 v[2:3], v2
.LBB8_253:
	s_mov_b32 s7, 0
.LBB8_254:
	s_andn2_b32 vcc_lo, exec_lo, s7
	s_cbranch_vccnz .LBB8_260
; %bb.255:
	s_cmp_gt_i32 s0, 0
	s_mov_b32 s0, 0
	s_cbranch_scc0 .LBB8_257
; %bb.256:
	global_load_sbyte v2, v[0:1], off
	s_waitcnt vmcnt(0)
	v_cvt_f64_i32_e32 v[2:3], v2
	s_branch .LBB8_258
.LBB8_257:
	s_mov_b32 s0, -1
                                        ; implicit-def: $vgpr2_vgpr3
.LBB8_258:
	s_andn2_b32 vcc_lo, exec_lo, s0
	s_cbranch_vccnz .LBB8_260
; %bb.259:
	global_load_ubyte v0, v[0:1], off
	s_waitcnt vmcnt(0)
	v_cvt_f64_u32_e32 v[2:3], v0
.LBB8_260:
	s_branch .LBB8_11
.LBB8_261:
	s_mov_b32 s0, 0
.LBB8_262:
	s_mov_b32 s16, 0
                                        ; implicit-def: $vgpr14
.LBB8_263:
	s_and_b32 s7, s0, exec_lo
	s_and_b32 s13, s13, exec_lo
	s_orn2_b32 s17, s16, exec_lo
.LBB8_264:
	s_or_b32 exec_lo, exec_lo, s14
	s_mov_b32 s16, 0
	s_mov_b32 s0, 0
                                        ; implicit-def: $vgpr0_vgpr1
                                        ; implicit-def: $vgpr2_vgpr3
	s_and_saveexec_b32 s14, s17
	s_cbranch_execz .LBB8_273
; %bb.265:
	s_mov_b32 s0, -1
	s_mov_b32 s15, s13
	s_mov_b32 s16, s7
	s_mov_b32 s17, exec_lo
	v_cmpx_gt_i32_e64 s12, v14
	s_cbranch_execz .LBB8_539
; %bb.266:
	v_mul_lo_u32 v0, v14, s3
	s_and_b32 s0, 0xffff, s5
	s_cmp_lt_i32 s0, 11
	v_ashrrev_i32_e32 v1, 31, v0
	v_add_co_u32 v0, vcc_lo, s10, v0
	v_add_co_ci_u32_e64 v1, null, s11, v1, vcc_lo
	s_cbranch_scc1 .LBB8_276
; %bb.267:
	s_cmp_gt_i32 s0, 25
	s_cbranch_scc0 .LBB8_297
; %bb.268:
	s_cmp_gt_i32 s0, 28
	s_cbranch_scc0 .LBB8_299
	;; [unrolled: 3-line block ×4, first 2 shown]
; %bb.271:
	s_cmp_eq_u32 s0, 46
	s_mov_b32 s18, 0
	s_cbranch_scc0 .LBB8_309
; %bb.272:
	global_load_dword v2, v[0:1], off
	s_mov_b32 s16, -1
	s_mov_b32 s15, 0
	s_waitcnt vmcnt(0)
	v_lshlrev_b32_e32 v2, 16, v2
	v_cvt_f64_f32_e32 v[2:3], v2
	s_branch .LBB8_311
.LBB8_273:
	s_or_b32 exec_lo, exec_lo, s14
	s_mov_b32 s12, 0
	s_and_saveexec_b32 s14, s13
	s_cbranch_execnz .LBB8_899
.LBB8_274:
	s_or_b32 exec_lo, exec_lo, s14
	s_and_saveexec_b32 s13, s15
	s_xor_b32 s13, exec_lo, s13
	s_cbranch_execz .LBB8_900
.LBB8_275:
	global_load_ubyte v2, v[0:1], off
	s_or_b32 s0, s0, exec_lo
	s_waitcnt vmcnt(0)
	v_cmp_ne_u16_e32 vcc_lo, 0, v2
	v_mov_b32_e32 v2, 0
	v_cndmask_b32_e64 v3, 0, 0x3ff00000, vcc_lo
	s_or_b32 exec_lo, exec_lo, s13
	s_and_saveexec_b32 s13, s16
	s_cbranch_execz .LBB8_946
	s_branch .LBB8_901
.LBB8_276:
	s_mov_b32 s16, 0
	s_mov_b32 s15, s13
                                        ; implicit-def: $vgpr2_vgpr3
	s_cbranch_execnz .LBB8_488
.LBB8_277:
	s_andn2_b32 vcc_lo, exec_lo, s16
	s_cbranch_vccnz .LBB8_536
.LBB8_278:
	s_waitcnt vmcnt(0)
	v_cmp_ge_f64_e64 s0, 0x40200000, |v[2:3]|
                                        ; implicit-def: $vgpr0_vgpr1
	s_and_saveexec_b32 s16, s0
	s_xor_b32 s0, exec_lo, s16
	s_cbranch_execz .LBB8_284
; %bb.279:
	v_fma_f64 v[0:1], |v[2:3]|, 0.5, -2.0
	s_mov_b32 s18, 0xc38a0576
	s_mov_b32 s19, 0xbc7857d0
	;; [unrolled: 1-line block ×4, first 2 shown]
	s_mov_b32 s16, exec_lo
	v_fma_f64 v[4:5], v[0:1], s[20:21], s[18:19]
	s_mov_b32 s21, 0xbc499f2a
	s_mov_b32 s18, 0xe593bfac
	;; [unrolled: 1-line block ×3, first 2 shown]
	v_fma_f64 v[6:7], v[0:1], v[4:5], s[20:21]
	s_mov_b32 s20, 0x3b39803f
	s_mov_b32 s21, 0xbc7abc9e
	v_add_f64 v[6:7], v[6:7], s[18:19]
	s_mov_b32 s18, 0x7e0d1573
	s_mov_b32 s19, 0xbcd3eaaa
	v_fma_f64 v[4:5], v[0:1], v[6:7], -v[4:5]
	v_add_f64 v[4:5], v[4:5], s[18:19]
	s_mov_b32 s18, 0x615290c
	s_mov_b32 s19, 0x3d011d7f
	v_fma_f64 v[6:7], v[0:1], v[4:5], -v[6:7]
	;; [unrolled: 4-line block ×20, first 2 shown]
	v_add_f64 v[6:7], v[6:7], s[18:19]
	s_mov_b32 s18, 0x652b82fe
	s_mov_b32 s19, 0x3ff71547
	v_mul_f64 v[8:9], |v[2:3]|, s[18:19]
	s_mov_b32 s18, 0x7913a26a
	s_mov_b32 s19, 0xbf85a29f
	v_fma_f64 v[4:5], v[0:1], v[6:7], -v[4:5]
	v_rndne_f64_e32 v[8:9], v[8:9]
	v_add_f64 v[4:5], v[4:5], s[18:19]
	s_mov_b32 s18, 0xfefa39ef
	s_mov_b32 s19, 0xbfe62e42
	v_fma_f64 v[10:11], v[8:9], s[18:19], |v[2:3]|
	s_mov_b32 s18, 0xe7bb2349
	s_mov_b32 s19, 0x3f9951e3
	v_fma_f64 v[6:7], v[0:1], v[4:5], -v[6:7]
	v_fma_f64 v[10:11], v[8:9], s[20:21], v[10:11]
	s_mov_b32 s20, 0x6a5dcb37
	s_mov_b32 s21, 0x3e5ade15
	v_cvt_i32_f64_e32 v8, v[8:9]
	v_add_f64 v[6:7], v[6:7], s[18:19]
	s_mov_b32 s18, 0xfca7ab0c
	s_mov_b32 s19, 0x3e928af3
	v_fma_f64 v[12:13], v[10:11], s[20:21], s[18:19]
	s_mov_b32 s18, 0x537c9ebc
	s_mov_b32 s20, 0x623fde64
	;; [unrolled: 1-line block ×4, first 2 shown]
	v_fma_f64 v[4:5], v[0:1], v[6:7], -v[4:5]
	v_fma_f64 v[12:13], v[10:11], v[12:13], s[20:21]
	s_mov_b32 s20, 0x14761f6e
	s_mov_b32 s21, 0x3f2a01a0
	v_add_f64 v[4:5], v[4:5], s[18:19]
	s_mov_b32 s18, 0x7c89e6b0
	s_mov_b32 s19, 0x3efa0199
	v_fma_f64 v[12:13], v[10:11], v[12:13], s[18:19]
	s_mov_b32 s18, 0xd536f53c
	s_mov_b32 s19, 0x3fba46da
	v_fma_f64 v[6:7], v[0:1], v[4:5], -v[6:7]
	v_fma_f64 v[12:13], v[10:11], v[12:13], s[20:21]
	s_mov_b32 s20, 0x11122322
	s_mov_b32 s21, 0x3f811111
	v_add_f64 v[6:7], v[6:7], s[18:19]
	s_mov_b32 s18, 0x1852b7b0
	s_mov_b32 s19, 0x3f56c16c
	v_fma_f64 v[12:13], v[10:11], v[12:13], s[18:19]
	s_mov_b32 s18, 0x469192e
	s_mov_b32 s19, 0xbfc694d1
	;; [unrolled: 10-line block ×3, first 2 shown]
	v_fma_f64 v[0:1], v[0:1], v[4:5], -v[6:7]
	v_fma_f64 v[4:5], v[10:11], v[12:13], s[20:21]
	v_add_f64 v[0:1], v[0:1], s[18:19]
	s_mov_b32 s18, 11
	s_mov_b32 s19, 0x3fe00000
	v_fma_f64 v[4:5], v[10:11], v[4:5], s[18:19]
	v_add_f64 v[0:1], v[0:1], -v[6:7]
	v_fma_f64 v[4:5], v[10:11], v[4:5], 1.0
	v_mul_f64 v[0:1], v[0:1], 0.5
	v_fma_f64 v[6:7], v[10:11], v[4:5], 1.0
	v_mul_f64 v[4:5], |v[2:3]|, v[0:1]
                                        ; implicit-def: $vgpr0_vgpr1
	v_cmpx_ngt_f64_e32 0, v[2:3]
	s_xor_b32 s16, exec_lo, s16
	s_cbranch_execz .LBB8_281
; %bb.280:
	v_ldexp_f64 v[0:1], v[6:7], v8
	v_cmp_nlt_f64_e64 vcc_lo, 0x40900000, |v[2:3]|
                                        ; implicit-def: $vgpr6_vgpr7
                                        ; implicit-def: $vgpr8
                                        ; implicit-def: $vgpr2_vgpr3
	v_cndmask_b32_e32 v1, 0x7ff00000, v1, vcc_lo
	v_cndmask_b32_e32 v0, 0, v0, vcc_lo
	v_mul_f64 v[0:1], v[0:1], v[4:5]
                                        ; implicit-def: $vgpr4_vgpr5
.LBB8_281:
	s_andn2_saveexec_b32 s16, s16
	s_cbranch_execz .LBB8_283
; %bb.282:
	v_ldexp_f64 v[0:1], -v[6:7], v8
	v_cmp_nlt_f64_e64 vcc_lo, 0x40900000, |v[2:3]|
	v_cndmask_b32_e32 v1, 0xfff00000, v1, vcc_lo
	v_cndmask_b32_e32 v0, 0, v0, vcc_lo
	v_mul_f64 v[0:1], v[0:1], v[4:5]
.LBB8_283:
	s_or_b32 exec_lo, exec_lo, s16
                                        ; implicit-def: $vgpr2_vgpr3
.LBB8_284:
	s_andn2_saveexec_b32 s16, s0
	s_cbranch_execz .LBB8_290
; %bb.285:
	v_and_b32_e32 v1, 0x7fffffff, v3
	v_mov_b32_e32 v0, v2
	s_mov_b32 s18, 0xea87b950
	s_mov_b32 s19, 0x3c545b8a
	;; [unrolled: 1-line block ×4, first 2 shown]
	v_div_scale_f64 v[4:5], null, v[0:1], v[0:1], 0x40400000
	v_div_scale_f64 v[0:1], vcc_lo, 0x40400000, v[0:1], 0x40400000
	v_cmp_ngt_f64_e64 s0, 0, v[2:3]
	v_rcp_f64_e32 v[6:7], v[4:5]
	v_fma_f64 v[8:9], -v[4:5], v[6:7], 1.0
	v_fma_f64 v[6:7], v[6:7], v[8:9], v[6:7]
	v_fma_f64 v[8:9], -v[4:5], v[6:7], 1.0
	v_fma_f64 v[6:7], v[6:7], v[8:9], v[6:7]
	v_mul_f64 v[8:9], v[0:1], v[6:7]
	v_fma_f64 v[0:1], -v[4:5], v[8:9], v[0:1]
	v_div_fmas_f64 v[0:1], v[0:1], v[6:7], v[8:9]
	v_cmp_nlt_f64_e64 vcc_lo, 0x40900000, |v[2:3]|
	v_div_fixup_f64 v[0:1], v[0:1], |v[2:3]|, 0x40400000
	v_add_f64 v[0:1], v[0:1], -2.0
	v_fma_f64 v[4:5], v[0:1], s[20:21], s[18:19]
	s_mov_b32 s21, 0xbc61556d
	s_mov_b32 s18, 0xb2532277
	;; [unrolled: 1-line block ×3, first 2 shown]
	v_fma_f64 v[6:7], v[0:1], v[4:5], s[20:21]
	s_mov_b32 s20, 0x6a5dcb37
	s_mov_b32 s21, 0x3e5ade15
	v_add_f64 v[6:7], v[6:7], s[18:19]
	s_mov_b32 s18, 0x9c773320
	s_mov_b32 s19, 0xbc82806c
	v_fma_f64 v[4:5], v[0:1], v[6:7], -v[4:5]
	v_add_f64 v[4:5], v[4:5], s[18:19]
	s_mov_b32 s18, 0xfceb588a
	s_mov_b32 s19, 0x3cb55915
	v_fma_f64 v[6:7], v[0:1], v[4:5], -v[6:7]
	;; [unrolled: 4-line block ×14, first 2 shown]
	v_add_f64 v[6:7], v[6:7], s[18:19]
	s_mov_b32 s18, 0x652b82fe
	s_mov_b32 s19, 0x3ff71547
	v_mul_f64 v[8:9], |v[2:3]|, s[18:19]
	s_mov_b32 s18, 0x5423dd80
	s_mov_b32 s19, 0xbe0334ca
	v_fma_f64 v[4:5], v[0:1], v[6:7], -v[4:5]
	v_rndne_f64_e32 v[8:9], v[8:9]
	v_add_f64 v[4:5], v[4:5], s[18:19]
	s_mov_b32 s18, 0xfefa39ef
	s_mov_b32 s19, 0xbfe62e42
	v_fma_f64 v[10:11], v[8:9], s[18:19], |v[2:3]|
	s_mov_b32 s18, 0x9ad53528
	s_mov_b32 s19, 0xbe30790b
	v_fma_f64 v[6:7], v[0:1], v[4:5], -v[6:7]
	v_add_f64 v[6:7], v[6:7], s[18:19]
	s_mov_b32 s18, 0x3b39803f
	s_mov_b32 s19, 0xbc7abc9e
	v_fma_f64 v[10:11], v[8:9], s[18:19], v[10:11]
	s_mov_b32 s18, 0xfca7ab0c
	s_mov_b32 s19, 0x3e928af3
	v_cvt_i32_f64_e32 v8, v[8:9]
	v_fma_f64 v[4:5], v[0:1], v[6:7], -v[4:5]
	v_fma_f64 v[12:13], v[10:11], s[20:21], s[18:19]
	s_mov_b32 s18, 0x94bb46c1
	s_mov_b32 s19, 0xbe5c4153
	v_add_f64 v[4:5], v[4:5], s[18:19]
	s_mov_b32 s18, 0x623fde64
	s_mov_b32 s19, 0x3ec71dee
	v_fma_f64 v[12:13], v[10:11], v[12:13], s[18:19]
	s_mov_b32 s18, 0x7c89e6b0
	s_mov_b32 s19, 0x3efa0199
	v_fma_f64 v[6:7], v[0:1], v[4:5], -v[6:7]
	v_fma_f64 v[12:13], v[10:11], v[12:13], s[18:19]
	s_mov_b32 s18, 0x2e9e5443
	s_mov_b32 s19, 0xbe90dbfd
	v_add_f64 v[6:7], v[6:7], s[18:19]
	s_mov_b32 s18, 0x14761f6e
	s_mov_b32 s19, 0x3f2a01a0
	v_fma_f64 v[12:13], v[10:11], v[12:13], s[18:19]
	s_mov_b32 s18, 0x1852b7b0
	s_mov_b32 s19, 0x3f56c16c
	;; [unrolled: 10-line block ×4, first 2 shown]
	v_fma_f64 v[4:5], v[0:1], v[6:7], -v[4:5]
	v_fma_f64 v[12:13], v[10:11], v[12:13], s[18:19]
	s_mov_b32 s18, 0x53fcdb4c
	s_mov_b32 s19, 0xbf83fda0
	v_add_f64 v[4:5], v[4:5], s[18:19]
	s_mov_b32 s18, 0xb55b1514
	s_mov_b32 s19, 0x3fe8ea18
	v_fma_f64 v[12:13], v[10:11], v[12:13], 1.0
	v_fma_f64 v[0:1], v[0:1], v[4:5], -v[6:7]
	v_fma_f64 v[4:5], v[10:11], v[12:13], 1.0
	v_add_f64 v[0:1], v[0:1], s[18:19]
	v_ldexp_f64 v[4:5], v[4:5], v8
	v_add_f64 v[6:7], v[0:1], -v[6:7]
                                        ; implicit-def: $vgpr0_vgpr1
	v_cndmask_b32_e32 v5, 0x7ff00000, v5, vcc_lo
	v_cndmask_b32_e32 v4, 0, v4, vcc_lo
	s_and_saveexec_b32 s18, s0
	s_xor_b32 s0, exec_lo, s18
	s_cbranch_execz .LBB8_287
; %bb.286:
	v_cmp_gt_f64_e64 s18, 0x10000000, |v[2:3]|
	v_mul_f64 v[6:7], v[6:7], 0.5
	v_cndmask_b32_e64 v0, 0, 0x100, s18
	v_mul_f64 v[4:5], v[4:5], v[6:7]
	v_ldexp_f64 v[0:1], |v[2:3]|, v0
	v_rsq_f64_e32 v[2:3], v[0:1]
	v_cmp_class_f64_e64 vcc_lo, v[0:1], 0x260
	v_mul_f64 v[8:9], v[0:1], v[2:3]
	v_mul_f64 v[2:3], v[2:3], 0.5
	v_fma_f64 v[10:11], -v[2:3], v[8:9], 0.5
	v_fma_f64 v[8:9], v[8:9], v[10:11], v[8:9]
	v_fma_f64 v[2:3], v[2:3], v[10:11], v[2:3]
	v_fma_f64 v[10:11], -v[8:9], v[8:9], v[0:1]
	v_fma_f64 v[8:9], v[10:11], v[2:3], v[8:9]
	v_fma_f64 v[10:11], -v[8:9], v[8:9], v[0:1]
	v_fma_f64 v[2:3], v[10:11], v[2:3], v[8:9]
	v_cndmask_b32_e64 v8, 0, 0xffffff80, s18
	v_ldexp_f64 v[2:3], v[2:3], v8
	v_cndmask_b32_e32 v1, v3, v1, vcc_lo
	v_cndmask_b32_e32 v0, v2, v0, vcc_lo
	v_div_scale_f64 v[2:3], null, v[0:1], v[0:1], v[4:5]
	v_rcp_f64_e32 v[6:7], v[2:3]
	v_fma_f64 v[8:9], -v[2:3], v[6:7], 1.0
	v_fma_f64 v[6:7], v[6:7], v[8:9], v[6:7]
	v_fma_f64 v[8:9], -v[2:3], v[6:7], 1.0
	v_fma_f64 v[6:7], v[6:7], v[8:9], v[6:7]
	v_div_scale_f64 v[8:9], vcc_lo, v[4:5], v[0:1], v[4:5]
	v_mul_f64 v[10:11], v[8:9], v[6:7]
	v_fma_f64 v[2:3], -v[2:3], v[10:11], v[8:9]
	v_div_fmas_f64 v[2:3], v[2:3], v[6:7], v[10:11]
                                        ; implicit-def: $vgpr6_vgpr7
	v_div_fixup_f64 v[0:1], v[2:3], v[0:1], v[4:5]
                                        ; implicit-def: $vgpr2_vgpr3
                                        ; implicit-def: $vgpr4_vgpr5
.LBB8_287:
	s_andn2_saveexec_b32 s0, s0
	s_cbranch_execz .LBB8_289
; %bb.288:
	v_cmp_gt_f64_e64 s18, 0x10000000, |v[2:3]|
	v_mul_f64 v[6:7], v[6:7], -0.5
	v_cndmask_b32_e64 v0, 0, 0x100, s18
	v_mul_f64 v[4:5], v[4:5], v[6:7]
	v_ldexp_f64 v[0:1], |v[2:3]|, v0
	v_rsq_f64_e32 v[2:3], v[0:1]
	v_cmp_class_f64_e64 vcc_lo, v[0:1], 0x260
	v_mul_f64 v[8:9], v[0:1], v[2:3]
	v_mul_f64 v[2:3], v[2:3], 0.5
	v_fma_f64 v[10:11], -v[2:3], v[8:9], 0.5
	v_fma_f64 v[8:9], v[8:9], v[10:11], v[8:9]
	v_fma_f64 v[2:3], v[2:3], v[10:11], v[2:3]
	v_fma_f64 v[10:11], -v[8:9], v[8:9], v[0:1]
	v_fma_f64 v[8:9], v[10:11], v[2:3], v[8:9]
	v_fma_f64 v[10:11], -v[8:9], v[8:9], v[0:1]
	v_fma_f64 v[2:3], v[10:11], v[2:3], v[8:9]
	v_cndmask_b32_e64 v8, 0, 0xffffff80, s18
	v_ldexp_f64 v[2:3], v[2:3], v8
	v_cndmask_b32_e32 v1, v3, v1, vcc_lo
	v_cndmask_b32_e32 v0, v2, v0, vcc_lo
	v_div_scale_f64 v[2:3], null, v[0:1], v[0:1], v[4:5]
	v_rcp_f64_e32 v[6:7], v[2:3]
	v_fma_f64 v[8:9], -v[2:3], v[6:7], 1.0
	v_fma_f64 v[6:7], v[6:7], v[8:9], v[6:7]
	v_fma_f64 v[8:9], -v[2:3], v[6:7], 1.0
	v_fma_f64 v[6:7], v[6:7], v[8:9], v[6:7]
	v_div_scale_f64 v[8:9], vcc_lo, v[4:5], v[0:1], v[4:5]
	v_mul_f64 v[10:11], v[8:9], v[6:7]
	v_fma_f64 v[2:3], -v[2:3], v[10:11], v[8:9]
	v_div_fmas_f64 v[2:3], v[2:3], v[6:7], v[10:11]
	v_div_fixup_f64 v[0:1], v[2:3], v[0:1], v[4:5]
.LBB8_289:
	s_or_b32 exec_lo, exec_lo, s0
.LBB8_290:
	s_or_b32 exec_lo, exec_lo, s16
	v_mul_lo_u32 v2, v14, s2
	s_and_b32 s16, s1, 0xff
	s_cmp_lt_i32 s16, 11
	v_ashrrev_i32_e32 v3, 31, v2
	v_add_co_u32 v4, vcc_lo, s8, v2
	v_add_co_ci_u32_e64 v5, null, s9, v3, vcc_lo
	s_cbranch_scc1 .LBB8_298
; %bb.291:
	s_and_b32 s18, 0xffff, s16
	s_cmp_gt_i32 s18, 25
	s_cbranch_scc0 .LBB8_300
; %bb.292:
	s_cmp_gt_i32 s18, 28
	s_cbranch_scc0 .LBB8_302
; %bb.293:
	;; [unrolled: 3-line block ×4, first 2 shown]
	s_mov_b32 s20, 0
	s_mov_b32 s0, -1
	s_cmp_eq_u32 s18, 46
	s_mov_b32 s19, 0
	s_cbranch_scc0 .LBB8_315
; %bb.296:
	v_cvt_f32_f64_e32 v2, v[0:1]
	s_mov_b32 s19, -1
	s_mov_b32 s0, 0
	v_bfe_u32 v3, v2, 16, 1
	v_cmp_o_f32_e32 vcc_lo, v2, v2
	v_add3_u32 v2, v2, v3, 0x7fff
	v_mov_b32_e32 v3, 0x7fc0
	v_cndmask_b32_sdwa v2, v3, v2, vcc_lo dst_sel:DWORD dst_unused:UNUSED_PAD src0_sel:DWORD src1_sel:WORD_1
	global_store_dword v[4:5], v2, off
	s_branch .LBB8_315
.LBB8_297:
	s_mov_b32 s18, -1
	s_mov_b32 s16, 0
	s_mov_b32 s15, s13
                                        ; implicit-def: $vgpr2_vgpr3
	s_branch .LBB8_454
.LBB8_298:
	s_mov_b32 s18, -1
	s_mov_b32 s19, 0
	s_mov_b32 s0, s7
	s_branch .LBB8_384
.LBB8_299:
	s_mov_b32 s18, -1
	s_mov_b32 s16, 0
	s_mov_b32 s15, s13
                                        ; implicit-def: $vgpr2_vgpr3
	s_branch .LBB8_433
.LBB8_300:
	s_mov_b32 s20, -1
	s_mov_b32 s19, 0
	s_mov_b32 s0, s7
	s_branch .LBB8_342
.LBB8_301:
	s_mov_b32 s18, -1
	s_mov_b32 s16, 0
	s_mov_b32 s15, s13
                                        ; implicit-def: $vgpr2_vgpr3
	s_branch .LBB8_428
.LBB8_302:
	s_mov_b32 s20, -1
	s_mov_b32 s19, 0
	s_mov_b32 s0, s7
	s_branch .LBB8_325
.LBB8_303:
	s_andn2_saveexec_b32 s19, s19
	s_cbranch_execz .LBB8_66
.LBB8_304:
	v_add_f32_e64 v3, 0x46000000, |v2|
	s_andn2_b32 s18, s18, exec_lo
	v_and_b32_e32 v3, 0xff, v3
	v_cmp_ne_u32_e32 vcc_lo, 0, v3
	s_and_b32 s20, vcc_lo, exec_lo
	s_or_b32 s18, s18, s20
	s_or_b32 exec_lo, exec_lo, s19
	v_mov_b32_e32 v6, 0
	s_and_saveexec_b32 s19, s18
	s_cbranch_execnz .LBB8_67
	s_branch .LBB8_68
.LBB8_305:
	s_mov_b32 s18, -1
	s_mov_b32 s16, 0
	s_mov_b32 s15, s13
	s_branch .LBB8_310
.LBB8_306:
	s_mov_b32 s20, -1
	s_mov_b32 s19, 0
	s_mov_b32 s0, s7
	s_branch .LBB8_321
.LBB8_307:
	s_andn2_saveexec_b32 s19, s19
	s_cbranch_execz .LBB8_79
.LBB8_308:
	v_add_f32_e64 v3, 0x42800000, |v2|
	s_andn2_b32 s18, s18, exec_lo
	v_and_b32_e32 v3, 0xff, v3
	v_cmp_ne_u32_e32 vcc_lo, 0, v3
	s_and_b32 s20, vcc_lo, exec_lo
	s_or_b32 s18, s18, s20
	s_or_b32 exec_lo, exec_lo, s19
	v_mov_b32_e32 v6, 0
	s_and_saveexec_b32 s19, s18
	s_cbranch_execnz .LBB8_80
	s_branch .LBB8_81
.LBB8_309:
	s_mov_b32 s15, -1
	s_mov_b32 s16, 0
.LBB8_310:
                                        ; implicit-def: $vgpr2_vgpr3
.LBB8_311:
	s_and_b32 vcc_lo, exec_lo, s18
	s_cbranch_vccz .LBB8_427
; %bb.312:
	s_cmp_eq_u32 s0, 44
	s_cbranch_scc0 .LBB8_426
; %bb.313:
	global_load_ubyte v4, v[0:1], off
	s_mov_b32 s15, 0
	s_mov_b32 s16, -1
	s_waitcnt vmcnt(0)
	v_lshlrev_b32_e32 v2, 23, v4
	v_cmp_ne_u32_e32 vcc_lo, 0xff, v4
	v_cvt_f64_f32_e32 v[2:3], v2
	v_cndmask_b32_e32 v2, 0x20000000, v2, vcc_lo
	v_cndmask_b32_e32 v3, 0x7ff80000, v3, vcc_lo
	v_cmp_ne_u32_e32 vcc_lo, 0, v4
	v_cndmask_b32_e32 v3, 0x38000000, v3, vcc_lo
	v_cndmask_b32_e32 v2, 0, v2, vcc_lo
	s_branch .LBB8_427
.LBB8_314:
	s_mov_b32 s20, -1
	s_mov_b32 s19, 0
	s_mov_b32 s0, s7
.LBB8_315:
	s_and_b32 vcc_lo, exec_lo, s20
	s_cbranch_vccz .LBB8_320
; %bb.316:
	s_cmp_eq_u32 s18, 44
	s_mov_b32 s0, -1
	s_cbranch_scc0 .LBB8_320
; %bb.317:
	v_cvt_f32_f64_e32 v2, v[0:1]
	v_mov_b32_e32 v3, 0xff
	s_mov_b32 s19, exec_lo
	v_bfe_u32 v6, v2, 23, 8
	v_cmpx_ne_u32_e32 0xff, v6
	s_cbranch_execz .LBB8_319
; %bb.318:
	v_and_b32_e32 v3, 0x400000, v2
	v_and_or_b32 v6, 0x3fffff, v2, v6
	v_lshrrev_b32_e32 v2, 23, v2
	v_cmp_ne_u32_e32 vcc_lo, 0, v3
	v_cmp_ne_u32_e64 s0, 0, v6
	s_and_b32 s0, vcc_lo, s0
	v_cndmask_b32_e64 v3, 0, 1, s0
	v_add_nc_u32_e32 v3, v2, v3
.LBB8_319:
	s_or_b32 exec_lo, exec_lo, s19
	s_mov_b32 s19, -1
	s_mov_b32 s0, 0
	global_store_byte v[4:5], v3, off
.LBB8_320:
	s_mov_b32 s20, 0
.LBB8_321:
	s_and_b32 vcc_lo, exec_lo, s20
	s_cbranch_vccz .LBB8_324
; %bb.322:
	s_cmp_eq_u32 s18, 29
	s_mov_b32 s0, -1
	s_cbranch_scc0 .LBB8_324
; %bb.323:
	v_trunc_f64_e32 v[2:3], v[0:1]
	s_mov_b32 s19, -1
	s_mov_b32 s0, 0
	s_mov_b32 s20, 0
	v_ldexp_f64 v[6:7], v[2:3], 0xffffffe0
	v_floor_f64_e32 v[6:7], v[6:7]
	v_fma_f64 v[2:3], 0xc1f00000, v[6:7], v[2:3]
	v_cvt_u32_f64_e32 v7, v[6:7]
	v_cvt_u32_f64_e32 v6, v[2:3]
	global_store_dwordx2 v[4:5], v[6:7], off
	s_branch .LBB8_325
.LBB8_324:
	s_mov_b32 s20, 0
.LBB8_325:
	s_and_b32 vcc_lo, exec_lo, s20
	s_cbranch_vccz .LBB8_341
; %bb.326:
	s_cmp_lt_i32 s18, 27
	s_mov_b32 s19, -1
	s_cbranch_scc1 .LBB8_332
; %bb.327:
	v_cvt_u32_f64_e32 v2, v[0:1]
	s_cmp_gt_i32 s18, 27
	s_cbranch_scc0 .LBB8_329
; %bb.328:
	s_mov_b32 s19, 0
	global_store_dword v[4:5], v2, off
.LBB8_329:
	s_andn2_b32 vcc_lo, exec_lo, s19
	s_cbranch_vccnz .LBB8_331
; %bb.330:
	global_store_short v[4:5], v2, off
.LBB8_331:
	s_mov_b32 s19, 0
.LBB8_332:
	s_andn2_b32 vcc_lo, exec_lo, s19
	s_cbranch_vccnz .LBB8_340
; %bb.333:
	v_cvt_f32_f64_e32 v2, v[0:1]
	v_mov_b32_e32 v6, 0x80
	s_mov_b32 s19, exec_lo
	v_and_b32_e32 v3, 0x7fffffff, v2
	v_cmpx_gt_u32_e32 0x43800000, v3
	s_cbranch_execz .LBB8_339
; %bb.334:
	v_cmp_lt_u32_e32 vcc_lo, 0x3bffffff, v3
	s_mov_b32 s20, 0
                                        ; implicit-def: $vgpr3
	s_and_saveexec_b32 s21, vcc_lo
	s_xor_b32 s21, exec_lo, s21
	s_cbranch_execz .LBB8_552
; %bb.335:
	v_bfe_u32 v3, v2, 20, 1
	s_mov_b32 s20, exec_lo
	v_add3_u32 v3, v2, v3, 0x487ffff
	v_lshrrev_b32_e32 v3, 20, v3
	s_andn2_saveexec_b32 s21, s21
	s_cbranch_execnz .LBB8_553
.LBB8_336:
	s_or_b32 exec_lo, exec_lo, s21
	v_mov_b32_e32 v6, 0
	s_and_saveexec_b32 s21, s20
.LBB8_337:
	v_lshrrev_b32_e32 v2, 24, v2
	v_and_or_b32 v6, 0x80, v2, v3
.LBB8_338:
	s_or_b32 exec_lo, exec_lo, s21
.LBB8_339:
	s_or_b32 exec_lo, exec_lo, s19
	global_store_byte v[4:5], v6, off
.LBB8_340:
	s_mov_b32 s19, -1
.LBB8_341:
	s_mov_b32 s20, 0
.LBB8_342:
	s_and_b32 vcc_lo, exec_lo, s20
	s_cbranch_vccz .LBB8_383
; %bb.343:
	s_cmp_gt_i32 s18, 22
	s_mov_b32 s20, -1
	s_cbranch_scc0 .LBB8_375
; %bb.344:
	s_cmp_lt_i32 s18, 24
	s_mov_b32 s19, -1
	s_cbranch_scc1 .LBB8_364
; %bb.345:
	s_cmp_gt_i32 s18, 24
	s_cbranch_scc0 .LBB8_353
; %bb.346:
	v_cvt_f32_f64_e32 v2, v[0:1]
	v_mov_b32_e32 v6, 0x80
	s_mov_b32 s19, exec_lo
	v_and_b32_e32 v3, 0x7fffffff, v2
	v_cmpx_gt_u32_e32 0x47800000, v3
	s_cbranch_execz .LBB8_352
; %bb.347:
	v_cmp_lt_u32_e32 vcc_lo, 0x37ffffff, v3
	s_mov_b32 s20, 0
                                        ; implicit-def: $vgpr3
	s_and_saveexec_b32 s21, vcc_lo
	s_xor_b32 s21, exec_lo, s21
	s_cbranch_execz .LBB8_555
; %bb.348:
	v_bfe_u32 v3, v2, 21, 1
	s_mov_b32 s20, exec_lo
	v_add3_u32 v3, v2, v3, 0x88fffff
	v_lshrrev_b32_e32 v3, 21, v3
	s_andn2_saveexec_b32 s21, s21
	s_cbranch_execnz .LBB8_556
.LBB8_349:
	s_or_b32 exec_lo, exec_lo, s21
	v_mov_b32_e32 v6, 0
	s_and_saveexec_b32 s21, s20
.LBB8_350:
	v_lshrrev_b32_e32 v2, 24, v2
	v_and_or_b32 v6, 0x80, v2, v3
.LBB8_351:
	s_or_b32 exec_lo, exec_lo, s21
.LBB8_352:
	s_or_b32 exec_lo, exec_lo, s19
	s_mov_b32 s19, 0
	global_store_byte v[4:5], v6, off
.LBB8_353:
	s_and_b32 vcc_lo, exec_lo, s19
	s_cbranch_vccz .LBB8_363
; %bb.354:
	v_cvt_f32_f64_e32 v2, v[0:1]
	s_mov_b32 s19, exec_lo
                                        ; implicit-def: $vgpr3
	v_and_b32_e32 v6, 0x7fffffff, v2
	v_cmpx_gt_u32_e32 0x43f00000, v6
	s_xor_b32 s19, exec_lo, s19
	s_cbranch_execz .LBB8_360
; %bb.355:
	s_mov_b32 s20, exec_lo
                                        ; implicit-def: $vgpr3
	v_cmpx_lt_u32_e32 0x3c7fffff, v6
	s_xor_b32 s20, exec_lo, s20
; %bb.356:
	v_bfe_u32 v3, v2, 20, 1
	v_add3_u32 v3, v2, v3, 0x407ffff
	v_and_b32_e32 v6, 0xff00000, v3
	v_lshrrev_b32_e32 v3, 20, v3
	v_cmp_ne_u32_e32 vcc_lo, 0x7f00000, v6
	v_cndmask_b32_e32 v3, 0x7e, v3, vcc_lo
; %bb.357:
	s_andn2_saveexec_b32 s20, s20
; %bb.358:
	v_add_f32_e64 v3, 0x46800000, |v2|
; %bb.359:
	s_or_b32 exec_lo, exec_lo, s20
                                        ; implicit-def: $vgpr6
.LBB8_360:
	s_andn2_saveexec_b32 s19, s19
; %bb.361:
	v_mov_b32_e32 v3, 0x7f
	v_cmp_lt_u32_e32 vcc_lo, 0x7f800000, v6
	v_cndmask_b32_e32 v3, 0x7e, v3, vcc_lo
; %bb.362:
	s_or_b32 exec_lo, exec_lo, s19
	v_lshrrev_b32_e32 v2, 24, v2
	v_and_or_b32 v2, 0x80, v2, v3
	global_store_byte v[4:5], v2, off
.LBB8_363:
	s_mov_b32 s19, 0
.LBB8_364:
	s_andn2_b32 vcc_lo, exec_lo, s19
	s_cbranch_vccnz .LBB8_374
; %bb.365:
	v_cvt_f32_f64_e32 v2, v[0:1]
	s_mov_b32 s19, exec_lo
                                        ; implicit-def: $vgpr3
	v_and_b32_e32 v6, 0x7fffffff, v2
	v_cmpx_gt_u32_e32 0x47800000, v6
	s_xor_b32 s19, exec_lo, s19
	s_cbranch_execz .LBB8_371
; %bb.366:
	s_mov_b32 s20, exec_lo
                                        ; implicit-def: $vgpr3
	v_cmpx_lt_u32_e32 0x387fffff, v6
	s_xor_b32 s20, exec_lo, s20
; %bb.367:
	v_bfe_u32 v3, v2, 21, 1
	v_add3_u32 v3, v2, v3, 0x80fffff
	v_lshrrev_b32_e32 v3, 21, v3
; %bb.368:
	s_andn2_saveexec_b32 s20, s20
; %bb.369:
	v_add_f32_e64 v3, 0x43000000, |v2|
; %bb.370:
	s_or_b32 exec_lo, exec_lo, s20
                                        ; implicit-def: $vgpr6
.LBB8_371:
	s_andn2_saveexec_b32 s19, s19
; %bb.372:
	v_mov_b32_e32 v3, 0x7f
	v_cmp_lt_u32_e32 vcc_lo, 0x7f800000, v6
	v_cndmask_b32_e32 v3, 0x7c, v3, vcc_lo
; %bb.373:
	s_or_b32 exec_lo, exec_lo, s19
	v_lshrrev_b32_e32 v2, 24, v2
	v_and_or_b32 v2, 0x80, v2, v3
	global_store_byte v[4:5], v2, off
.LBB8_374:
	s_mov_b32 s20, 0
	s_mov_b32 s19, -1
.LBB8_375:
	s_andn2_b32 vcc_lo, exec_lo, s20
	s_cbranch_vccnz .LBB8_383
; %bb.376:
	s_cmp_gt_i32 s18, 14
	s_mov_b32 s20, -1
	s_cbranch_scc0 .LBB8_380
; %bb.377:
	s_cmp_eq_u32 s18, 15
	s_mov_b32 s0, -1
	s_cbranch_scc0 .LBB8_379
; %bb.378:
	v_cvt_f32_f64_e32 v2, v[0:1]
	s_mov_b32 s19, -1
	s_mov_b32 s0, 0
	v_bfe_u32 v3, v2, 16, 1
	v_cmp_o_f32_e32 vcc_lo, v2, v2
	v_add3_u32 v2, v2, v3, 0x7fff
	v_mov_b32_e32 v3, 0x7fc0
	v_cndmask_b32_sdwa v2, v3, v2, vcc_lo dst_sel:DWORD dst_unused:UNUSED_PAD src0_sel:DWORD src1_sel:WORD_1
	global_store_short v[4:5], v2, off
.LBB8_379:
	s_mov_b32 s20, 0
.LBB8_380:
	s_and_b32 vcc_lo, exec_lo, s20
	s_cbranch_vccz .LBB8_383
; %bb.381:
	s_cmp_eq_u32 s18, 11
	s_mov_b32 s0, -1
	s_cbranch_scc0 .LBB8_383
; %bb.382:
	v_cmp_neq_f64_e32 vcc_lo, 0, v[0:1]
	s_mov_b32 s19, -1
	s_mov_b32 s0, 0
	v_cndmask_b32_e64 v2, 0, 1, vcc_lo
	global_store_byte v[4:5], v2, off
.LBB8_383:
	s_mov_b32 s18, 0
.LBB8_384:
	s_and_b32 vcc_lo, exec_lo, s18
	s_cbranch_vccz .LBB8_423
; %bb.385:
	s_and_b32 s16, 0xffff, s16
	s_mov_b32 s18, -1
	s_cmp_lt_i32 s16, 5
	s_cbranch_scc1 .LBB8_406
; %bb.386:
	s_cmp_lt_i32 s16, 8
	s_cbranch_scc1 .LBB8_396
; %bb.387:
	;; [unrolled: 3-line block ×3, first 2 shown]
	s_cmp_gt_i32 s16, 9
	s_cbranch_scc0 .LBB8_390
; %bb.389:
	v_mov_b32_e32 v2, 0
	s_mov_b32 s18, 0
	v_mov_b32_e32 v3, v2
	global_store_dwordx4 v[4:5], v[0:3], off
.LBB8_390:
	s_andn2_b32 vcc_lo, exec_lo, s18
	s_cbranch_vccnz .LBB8_392
; %bb.391:
	v_cvt_f32_f64_e32 v2, v[0:1]
	v_mov_b32_e32 v3, 0
	global_store_dwordx2 v[4:5], v[2:3], off
.LBB8_392:
	s_mov_b32 s18, 0
.LBB8_393:
	s_andn2_b32 vcc_lo, exec_lo, s18
	s_cbranch_vccnz .LBB8_395
; %bb.394:
	v_and_or_b32 v2, 0x1ff, v1, v0
	v_lshrrev_b32_e32 v3, 8, v1
	v_bfe_u32 v6, v1, 20, 11
	v_cmp_ne_u32_e32 vcc_lo, 0, v2
	v_sub_nc_u32_e32 v7, 0x3f1, v6
	v_add_nc_u32_e32 v6, 0xfffffc10, v6
	v_cndmask_b32_e64 v2, 0, 1, vcc_lo
	v_and_or_b32 v2, 0xffe, v3, v2
	v_med3_i32 v3, v7, 0, 13
	v_or_b32_e32 v7, 0x1000, v2
	v_lshrrev_b32_e32 v8, v3, v7
	v_lshlrev_b32_e32 v3, v3, v8
	v_cmp_ne_u32_e32 vcc_lo, v3, v7
	v_lshl_or_b32 v7, v6, 12, v2
	v_cndmask_b32_e64 v3, 0, 1, vcc_lo
	v_cmp_gt_i32_e32 vcc_lo, 1, v6
	v_or_b32_e32 v3, v8, v3
	v_cndmask_b32_e32 v3, v7, v3, vcc_lo
	v_and_b32_e32 v7, 7, v3
	v_lshrrev_b32_e32 v3, 2, v3
	v_cmp_lt_i32_e32 vcc_lo, 5, v7
	v_cndmask_b32_e64 v8, 0, 1, vcc_lo
	v_cmp_eq_u32_e32 vcc_lo, 3, v7
	v_cndmask_b32_e64 v7, 0, 1, vcc_lo
	v_cmp_ne_u32_e32 vcc_lo, 0, v2
	v_or_b32_e32 v7, v7, v8
	v_mov_b32_e32 v8, 0x7e00
	v_add_nc_u32_e32 v3, v3, v7
	v_cndmask_b32_e32 v2, 0x7c00, v8, vcc_lo
	v_cmp_gt_i32_e32 vcc_lo, 31, v6
	v_cndmask_b32_e32 v3, 0x7c00, v3, vcc_lo
	v_cmp_eq_u32_e32 vcc_lo, 0x40f, v6
	v_cndmask_b32_e32 v2, v3, v2, vcc_lo
	v_lshrrev_b32_e32 v3, 16, v1
	v_and_or_b32 v2, 0x8000, v3, v2
	v_and_b32_e32 v2, 0xffff, v2
	global_store_dword v[4:5], v2, off
.LBB8_395:
	s_mov_b32 s18, 0
.LBB8_396:
	s_andn2_b32 vcc_lo, exec_lo, s18
	s_cbranch_vccnz .LBB8_405
; %bb.397:
	s_cmp_lt_i32 s16, 6
	s_mov_b32 s18, -1
	s_cbranch_scc1 .LBB8_403
; %bb.398:
	s_cmp_gt_i32 s16, 6
	s_cbranch_scc0 .LBB8_400
; %bb.399:
	s_mov_b32 s18, 0
	global_store_dwordx2 v[4:5], v[0:1], off
.LBB8_400:
	s_andn2_b32 vcc_lo, exec_lo, s18
	s_cbranch_vccnz .LBB8_402
; %bb.401:
	v_cvt_f32_f64_e32 v2, v[0:1]
	global_store_dword v[4:5], v2, off
.LBB8_402:
	s_mov_b32 s18, 0
.LBB8_403:
	s_andn2_b32 vcc_lo, exec_lo, s18
	s_cbranch_vccnz .LBB8_405
; %bb.404:
	v_and_or_b32 v2, 0x1ff, v1, v0
	v_lshrrev_b32_e32 v3, 8, v1
	v_bfe_u32 v6, v1, 20, 11
	v_cmp_ne_u32_e32 vcc_lo, 0, v2
	v_sub_nc_u32_e32 v7, 0x3f1, v6
	v_add_nc_u32_e32 v6, 0xfffffc10, v6
	v_cndmask_b32_e64 v2, 0, 1, vcc_lo
	v_and_or_b32 v2, 0xffe, v3, v2
	v_med3_i32 v3, v7, 0, 13
	v_or_b32_e32 v7, 0x1000, v2
	v_lshrrev_b32_e32 v8, v3, v7
	v_lshlrev_b32_e32 v3, v3, v8
	v_cmp_ne_u32_e32 vcc_lo, v3, v7
	v_lshl_or_b32 v7, v6, 12, v2
	v_cndmask_b32_e64 v3, 0, 1, vcc_lo
	v_cmp_gt_i32_e32 vcc_lo, 1, v6
	v_or_b32_e32 v3, v8, v3
	v_cndmask_b32_e32 v3, v7, v3, vcc_lo
	v_and_b32_e32 v7, 7, v3
	v_lshrrev_b32_e32 v3, 2, v3
	v_cmp_lt_i32_e32 vcc_lo, 5, v7
	v_cndmask_b32_e64 v8, 0, 1, vcc_lo
	v_cmp_eq_u32_e32 vcc_lo, 3, v7
	v_cndmask_b32_e64 v7, 0, 1, vcc_lo
	v_cmp_ne_u32_e32 vcc_lo, 0, v2
	v_or_b32_e32 v7, v7, v8
	v_mov_b32_e32 v8, 0x7e00
	v_add_nc_u32_e32 v3, v3, v7
	v_cndmask_b32_e32 v2, 0x7c00, v8, vcc_lo
	v_cmp_gt_i32_e32 vcc_lo, 31, v6
	v_cndmask_b32_e32 v3, 0x7c00, v3, vcc_lo
	v_cmp_eq_u32_e32 vcc_lo, 0x40f, v6
	v_cndmask_b32_e32 v2, v3, v2, vcc_lo
	v_lshrrev_b32_e32 v3, 16, v1
	v_and_or_b32 v2, 0x8000, v3, v2
	global_store_short v[4:5], v2, off
.LBB8_405:
	s_mov_b32 s18, 0
.LBB8_406:
	s_andn2_b32 vcc_lo, exec_lo, s18
	s_cbranch_vccnz .LBB8_422
; %bb.407:
	s_cmp_lt_i32 s16, 2
	s_mov_b32 s18, -1
	s_cbranch_scc1 .LBB8_417
; %bb.408:
	s_cmp_lt_i32 s16, 3
	s_cbranch_scc1 .LBB8_414
; %bb.409:
	s_cmp_gt_i32 s16, 3
	s_cbranch_scc0 .LBB8_411
; %bb.410:
	v_trunc_f64_e32 v[2:3], v[0:1]
	s_mov_b32 s18, 0
	v_ldexp_f64 v[6:7], v[2:3], 0xffffffe0
	v_floor_f64_e32 v[6:7], v[6:7]
	v_fma_f64 v[2:3], 0xc1f00000, v[6:7], v[2:3]
	v_cvt_i32_f64_e32 v7, v[6:7]
	v_cvt_u32_f64_e32 v6, v[2:3]
	global_store_dwordx2 v[4:5], v[6:7], off
.LBB8_411:
	s_andn2_b32 vcc_lo, exec_lo, s18
	s_cbranch_vccnz .LBB8_413
; %bb.412:
	v_cvt_i32_f64_e32 v2, v[0:1]
	global_store_dword v[4:5], v2, off
.LBB8_413:
	s_mov_b32 s18, 0
.LBB8_414:
	s_andn2_b32 vcc_lo, exec_lo, s18
	s_cbranch_vccnz .LBB8_416
; %bb.415:
	v_cvt_i32_f64_e32 v2, v[0:1]
	global_store_short v[4:5], v2, off
.LBB8_416:
	s_mov_b32 s18, 0
.LBB8_417:
	s_andn2_b32 vcc_lo, exec_lo, s18
	s_cbranch_vccnz .LBB8_422
; %bb.418:
	s_cmp_gt_i32 s16, 0
	s_mov_b32 s16, -1
	s_cbranch_scc0 .LBB8_420
; %bb.419:
	v_cvt_i32_f64_e32 v2, v[0:1]
	s_mov_b32 s16, 0
	global_store_byte v[4:5], v2, off
.LBB8_420:
	s_andn2_b32 vcc_lo, exec_lo, s16
	s_cbranch_vccnz .LBB8_422
; %bb.421:
	v_trunc_f64_e32 v[0:1], v[0:1]
	v_ldexp_f64 v[2:3], v[0:1], 0xffffffe0
	v_floor_f64_e32 v[2:3], v[2:3]
	v_fma_f64 v[0:1], 0xc1f00000, v[2:3], v[0:1]
	v_cvt_u32_f64_e32 v0, v[0:1]
	global_store_byte v[4:5], v0, off
.LBB8_422:
	s_mov_b32 s19, -1
.LBB8_423:
	s_andn2_b32 vcc_lo, exec_lo, s19
	s_cbranch_vccnz .LBB8_425
; %bb.424:
	v_add_nc_u32_e32 v14, 0x80, v14
	s_mov_b32 s18, -1
	s_branch .LBB8_538
.LBB8_425:
	s_mov_b32 s18, 0
	s_branch .LBB8_537
.LBB8_426:
	s_mov_b32 s15, -1
                                        ; implicit-def: $vgpr2_vgpr3
.LBB8_427:
	s_mov_b32 s18, 0
.LBB8_428:
	s_and_b32 vcc_lo, exec_lo, s18
	s_cbranch_vccz .LBB8_432
; %bb.429:
	s_cmp_eq_u32 s0, 29
	s_cbranch_scc0 .LBB8_431
; %bb.430:
	global_load_dwordx2 v[2:3], v[0:1], off
	s_mov_b32 s16, -1
	s_mov_b32 s15, 0
	s_mov_b32 s18, 0
	s_waitcnt vmcnt(0)
	v_cvt_f64_u32_e32 v[3:4], v3
	v_cvt_f64_u32_e32 v[5:6], v2
	v_ldexp_f64 v[3:4], v[3:4], 32
	v_add_f64 v[2:3], v[3:4], v[5:6]
	s_branch .LBB8_433
.LBB8_431:
	s_mov_b32 s15, -1
                                        ; implicit-def: $vgpr2_vgpr3
.LBB8_432:
	s_mov_b32 s18, 0
.LBB8_433:
	s_and_b32 vcc_lo, exec_lo, s18
	s_cbranch_vccz .LBB8_453
; %bb.434:
	s_cmp_lt_i32 s0, 27
	s_cbranch_scc1 .LBB8_437
; %bb.435:
	s_cmp_gt_i32 s0, 27
	s_cbranch_scc0 .LBB8_438
; %bb.436:
	global_load_dword v2, v[0:1], off
	s_mov_b32 s16, 0
	s_waitcnt vmcnt(0)
	v_cvt_f64_u32_e32 v[2:3], v2
	s_branch .LBB8_439
.LBB8_437:
	s_mov_b32 s16, -1
                                        ; implicit-def: $vgpr2_vgpr3
	s_branch .LBB8_442
.LBB8_438:
	s_mov_b32 s16, -1
                                        ; implicit-def: $vgpr2_vgpr3
.LBB8_439:
	s_andn2_b32 vcc_lo, exec_lo, s16
	s_cbranch_vccnz .LBB8_441
; %bb.440:
	global_load_ushort v2, v[0:1], off
	s_waitcnt vmcnt(0)
	v_cvt_f64_u32_e32 v[2:3], v2
.LBB8_441:
	s_mov_b32 s16, 0
.LBB8_442:
	s_andn2_b32 vcc_lo, exec_lo, s16
	s_cbranch_vccnz .LBB8_452
; %bb.443:
	global_load_ubyte v4, v[0:1], off
	s_mov_b32 s16, 0
	s_mov_b32 s18, exec_lo
	s_waitcnt vmcnt(0)
	v_cmpx_lt_i16_e32 0x7f, v4
	s_xor_b32 s18, exec_lo, s18
	s_cbranch_execz .LBB8_447
; %bb.444:
	s_mov_b32 s16, -1
	s_mov_b32 s19, exec_lo
	v_cmpx_eq_u16_e32 0x80, v4
; %bb.445:
	s_xor_b32 s16, exec_lo, -1
; %bb.446:
	s_or_b32 exec_lo, exec_lo, s19
	s_and_b32 s16, s16, exec_lo
.LBB8_447:
	s_or_saveexec_b32 s18, s18
	v_bfrev_b32_e32 v2, 4
	v_mov_b32_e32 v3, 0x7ff80000
	s_xor_b32 exec_lo, exec_lo, s18
; %bb.448:
	v_cmp_ne_u16_e32 vcc_lo, 0, v4
	v_mov_b32_e32 v2, 0
	v_mov_b32_e32 v3, 0
	s_andn2_b32 s16, s16, exec_lo
	s_and_b32 s19, vcc_lo, exec_lo
	s_or_b32 s16, s16, s19
; %bb.449:
	s_or_b32 exec_lo, exec_lo, s18
	s_and_saveexec_b32 s18, s16
	s_cbranch_execz .LBB8_451
; %bb.450:
	v_and_b32_e32 v2, 0xffff, v4
	v_lshlrev_b32_e32 v4, 24, v4
	v_and_b32_e32 v3, 7, v2
	v_bfe_u32 v7, v2, 3, 4
	v_ffbh_u32_e32 v5, v3
	v_cmp_eq_u32_e32 vcc_lo, 0, v7
	v_min_u32_e32 v5, 32, v5
	v_subrev_nc_u32_e32 v6, 28, v5
	v_sub_nc_u32_e32 v5, 29, v5
	v_lshlrev_b32_e32 v2, v6, v2
	v_cndmask_b32_e32 v5, v7, v5, vcc_lo
	v_and_b32_e32 v2, 7, v2
	v_cndmask_b32_e32 v2, v3, v2, vcc_lo
	v_and_b32_e32 v3, 0x80000000, v4
	v_lshl_add_u32 v4, v5, 23, 0x3b800000
	v_lshlrev_b32_e32 v2, 20, v2
	v_or3_b32 v2, v3, v4, v2
	v_cvt_f64_f32_e32 v[2:3], v2
.LBB8_451:
	s_or_b32 exec_lo, exec_lo, s18
.LBB8_452:
	s_mov_b32 s16, -1
.LBB8_453:
	s_mov_b32 s18, 0
.LBB8_454:
	s_and_b32 vcc_lo, exec_lo, s18
	s_cbranch_vccz .LBB8_487
; %bb.455:
	s_cmp_gt_i32 s0, 22
	s_cbranch_scc0 .LBB8_467
; %bb.456:
	s_cmp_lt_i32 s0, 24
	s_cbranch_scc1 .LBB8_468
; %bb.457:
	s_cmp_gt_i32 s0, 24
	s_cbranch_scc0 .LBB8_469
; %bb.458:
	global_load_ubyte v4, v[0:1], off
	s_mov_b32 s16, 0
	s_mov_b32 s18, exec_lo
	s_waitcnt vmcnt(0)
	v_cmpx_lt_i16_e32 0x7f, v4
	s_xor_b32 s18, exec_lo, s18
	s_cbranch_execz .LBB8_462
; %bb.459:
	s_mov_b32 s16, -1
	s_mov_b32 s19, exec_lo
	v_cmpx_eq_u16_e32 0x80, v4
; %bb.460:
	s_xor_b32 s16, exec_lo, -1
; %bb.461:
	s_or_b32 exec_lo, exec_lo, s19
	s_and_b32 s16, s16, exec_lo
.LBB8_462:
	s_or_saveexec_b32 s18, s18
	v_bfrev_b32_e32 v2, 4
	v_mov_b32_e32 v3, 0x7ff80000
	s_xor_b32 exec_lo, exec_lo, s18
; %bb.463:
	v_cmp_ne_u16_e32 vcc_lo, 0, v4
	v_mov_b32_e32 v2, 0
	v_mov_b32_e32 v3, 0
	s_andn2_b32 s16, s16, exec_lo
	s_and_b32 s19, vcc_lo, exec_lo
	s_or_b32 s16, s16, s19
; %bb.464:
	s_or_b32 exec_lo, exec_lo, s18
	s_and_saveexec_b32 s18, s16
	s_cbranch_execz .LBB8_466
; %bb.465:
	v_and_b32_e32 v2, 0xffff, v4
	v_lshlrev_b32_e32 v4, 24, v4
	v_and_b32_e32 v3, 3, v2
	v_bfe_u32 v7, v2, 2, 5
	v_ffbh_u32_e32 v5, v3
	v_cmp_eq_u32_e32 vcc_lo, 0, v7
	v_min_u32_e32 v5, 32, v5
	v_subrev_nc_u32_e32 v6, 29, v5
	v_sub_nc_u32_e32 v5, 30, v5
	v_lshlrev_b32_e32 v2, v6, v2
	v_cndmask_b32_e32 v5, v7, v5, vcc_lo
	v_and_b32_e32 v2, 3, v2
	v_cndmask_b32_e32 v2, v3, v2, vcc_lo
	v_and_b32_e32 v3, 0x80000000, v4
	v_lshl_add_u32 v4, v5, 23, 0x37800000
	v_lshlrev_b32_e32 v2, 21, v2
	v_or3_b32 v2, v3, v4, v2
	v_cvt_f64_f32_e32 v[2:3], v2
.LBB8_466:
	s_or_b32 exec_lo, exec_lo, s18
	s_mov_b32 s16, 0
	s_branch .LBB8_470
.LBB8_467:
	s_mov_b32 s18, -1
                                        ; implicit-def: $vgpr2_vgpr3
	s_branch .LBB8_476
.LBB8_468:
	s_mov_b32 s16, -1
                                        ; implicit-def: $vgpr2_vgpr3
	s_branch .LBB8_473
.LBB8_469:
	s_mov_b32 s16, -1
                                        ; implicit-def: $vgpr2_vgpr3
.LBB8_470:
	s_and_b32 vcc_lo, exec_lo, s16
	s_cbranch_vccz .LBB8_472
; %bb.471:
	global_load_ubyte v2, v[0:1], off
	s_waitcnt vmcnt(0)
	v_lshlrev_b32_e32 v2, 24, v2
	v_and_b32_e32 v3, 0x7f000000, v2
	v_ffbh_u32_e32 v4, v3
	v_add_nc_u32_e32 v6, 0x1000000, v3
	v_cmp_ne_u32_e32 vcc_lo, 0, v3
	v_min_u32_e32 v4, 32, v4
	v_sub_nc_u32_e64 v4, v4, 4 clamp
	v_lshlrev_b32_e32 v5, v4, v3
	v_lshlrev_b32_e32 v4, 23, v4
	v_lshrrev_b32_e32 v5, 4, v5
	v_sub_nc_u32_e32 v4, v5, v4
	v_ashrrev_i32_e32 v5, 8, v6
	v_add_nc_u32_e32 v4, 0x3c000000, v4
	v_and_or_b32 v4, 0x7f800000, v5, v4
	v_cndmask_b32_e32 v3, 0, v4, vcc_lo
	v_and_or_b32 v2, 0x80000000, v2, v3
	v_cvt_f64_f32_e32 v[2:3], v2
.LBB8_472:
	s_mov_b32 s16, 0
.LBB8_473:
	s_andn2_b32 vcc_lo, exec_lo, s16
	s_cbranch_vccnz .LBB8_475
; %bb.474:
	global_load_ubyte v2, v[0:1], off
	s_waitcnt vmcnt(0)
	v_lshlrev_b32_e32 v3, 25, v2
	v_lshlrev_b16 v2, 8, v2
	v_lshrrev_b32_e32 v4, 4, v3
	v_and_or_b32 v5, 0x7f00, v2, 0.5
	v_cmp_gt_u32_e32 vcc_lo, 0x8000000, v3
	v_bfe_i32 v2, v2, 0, 16
	v_or_b32_e32 v4, 0x70000000, v4
	v_add_f32_e32 v5, -0.5, v5
	v_mul_f32_e32 v4, 0x7800000, v4
	v_cndmask_b32_e32 v3, v4, v5, vcc_lo
	v_and_or_b32 v2, 0x80000000, v2, v3
	v_cvt_f64_f32_e32 v[2:3], v2
.LBB8_475:
	s_mov_b32 s18, 0
	s_mov_b32 s16, -1
.LBB8_476:
	s_andn2_b32 vcc_lo, exec_lo, s18
	s_cbranch_vccnz .LBB8_487
; %bb.477:
	s_cmp_gt_i32 s0, 14
	s_cbranch_scc0 .LBB8_480
; %bb.478:
	s_cmp_eq_u32 s0, 15
	s_cbranch_scc0 .LBB8_481
; %bb.479:
	global_load_ushort v2, v[0:1], off
	s_mov_b32 s16, -1
	s_mov_b32 s15, 0
	s_waitcnt vmcnt(0)
	v_lshlrev_b32_e32 v2, 16, v2
	v_cvt_f64_f32_e32 v[2:3], v2
	s_branch .LBB8_482
.LBB8_480:
	s_mov_b32 s18, -1
                                        ; implicit-def: $vgpr2_vgpr3
	s_branch .LBB8_483
.LBB8_481:
	s_mov_b32 s15, -1
                                        ; implicit-def: $vgpr2_vgpr3
.LBB8_482:
	s_mov_b32 s18, 0
.LBB8_483:
	s_and_b32 vcc_lo, exec_lo, s18
	s_cbranch_vccz .LBB8_487
; %bb.484:
	s_cmp_eq_u32 s0, 11
	s_cbranch_scc0 .LBB8_486
; %bb.485:
	global_load_ubyte v2, v[0:1], off
	s_mov_b32 s15, 0
	s_mov_b32 s16, -1
	s_waitcnt vmcnt(0)
	v_cmp_ne_u16_e32 vcc_lo, 0, v2
	v_mov_b32_e32 v2, 0
	v_cndmask_b32_e64 v3, 0, 0x3ff00000, vcc_lo
	s_branch .LBB8_487
.LBB8_486:
	s_mov_b32 s15, -1
                                        ; implicit-def: $vgpr2_vgpr3
.LBB8_487:
	s_branch .LBB8_277
.LBB8_488:
	s_cmp_lt_i32 s0, 5
	s_cbranch_scc1 .LBB8_493
; %bb.489:
	s_cmp_lt_i32 s0, 8
	s_cbranch_scc1 .LBB8_494
; %bb.490:
	;; [unrolled: 3-line block ×3, first 2 shown]
	s_cmp_gt_i32 s0, 9
	s_cbranch_scc0 .LBB8_496
; %bb.492:
	global_load_dwordx2 v[2:3], v[0:1], off
	s_mov_b32 s16, 0
	s_branch .LBB8_497
.LBB8_493:
	s_mov_b32 s16, -1
                                        ; implicit-def: $vgpr2_vgpr3
	s_branch .LBB8_515
.LBB8_494:
	s_mov_b32 s16, -1
                                        ; implicit-def: $vgpr2_vgpr3
	s_branch .LBB8_503
.LBB8_495:
	s_mov_b32 s16, -1
                                        ; implicit-def: $vgpr2_vgpr3
	s_branch .LBB8_500
.LBB8_496:
	s_mov_b32 s16, -1
                                        ; implicit-def: $vgpr2_vgpr3
.LBB8_497:
	s_andn2_b32 vcc_lo, exec_lo, s16
	s_cbranch_vccnz .LBB8_499
; %bb.498:
	global_load_dword v2, v[0:1], off
	s_waitcnt vmcnt(0)
	v_cvt_f64_f32_e32 v[2:3], v2
.LBB8_499:
	s_mov_b32 s16, 0
.LBB8_500:
	s_andn2_b32 vcc_lo, exec_lo, s16
	s_cbranch_vccnz .LBB8_502
; %bb.501:
	global_load_dword v2, v[0:1], off
	s_waitcnt vmcnt(0)
	v_cvt_f32_f16_e32 v2, v2
	v_cvt_f64_f32_e32 v[2:3], v2
.LBB8_502:
	s_mov_b32 s16, 0
.LBB8_503:
	s_andn2_b32 vcc_lo, exec_lo, s16
	s_cbranch_vccnz .LBB8_514
; %bb.504:
	s_cmp_lt_i32 s0, 6
	s_cbranch_scc1 .LBB8_507
; %bb.505:
	s_cmp_gt_i32 s0, 6
	s_cbranch_scc0 .LBB8_508
; %bb.506:
	global_load_dwordx2 v[2:3], v[0:1], off
	s_mov_b32 s16, 0
	s_branch .LBB8_509
.LBB8_507:
	s_mov_b32 s16, -1
                                        ; implicit-def: $vgpr2_vgpr3
	s_branch .LBB8_512
.LBB8_508:
	s_mov_b32 s16, -1
                                        ; implicit-def: $vgpr2_vgpr3
.LBB8_509:
	s_andn2_b32 vcc_lo, exec_lo, s16
	s_cbranch_vccnz .LBB8_511
; %bb.510:
	global_load_dword v2, v[0:1], off
	s_waitcnt vmcnt(0)
	v_cvt_f64_f32_e32 v[2:3], v2
.LBB8_511:
	s_mov_b32 s16, 0
.LBB8_512:
	s_andn2_b32 vcc_lo, exec_lo, s16
	s_cbranch_vccnz .LBB8_514
; %bb.513:
	global_load_ushort v2, v[0:1], off
	s_waitcnt vmcnt(0)
	v_cvt_f32_f16_e32 v2, v2
	v_cvt_f64_f32_e32 v[2:3], v2
.LBB8_514:
	s_mov_b32 s16, 0
.LBB8_515:
	s_andn2_b32 vcc_lo, exec_lo, s16
	s_cbranch_vccnz .LBB8_535
; %bb.516:
	s_cmp_lt_i32 s0, 2
	s_cbranch_scc1 .LBB8_520
; %bb.517:
	s_cmp_lt_i32 s0, 3
	s_cbranch_scc1 .LBB8_521
; %bb.518:
	s_cmp_gt_i32 s0, 3
	s_cbranch_scc0 .LBB8_522
; %bb.519:
	global_load_dwordx2 v[2:3], v[0:1], off
	s_mov_b32 s16, 0
	s_waitcnt vmcnt(0)
	v_cvt_f64_i32_e32 v[3:4], v3
	v_cvt_f64_u32_e32 v[5:6], v2
	v_ldexp_f64 v[3:4], v[3:4], 32
	v_add_f64 v[2:3], v[3:4], v[5:6]
	s_branch .LBB8_523
.LBB8_520:
	s_mov_b32 s16, -1
                                        ; implicit-def: $vgpr2_vgpr3
	s_branch .LBB8_529
.LBB8_521:
	s_mov_b32 s16, -1
                                        ; implicit-def: $vgpr2_vgpr3
	s_branch .LBB8_526
.LBB8_522:
	s_mov_b32 s16, -1
                                        ; implicit-def: $vgpr2_vgpr3
.LBB8_523:
	s_andn2_b32 vcc_lo, exec_lo, s16
	s_cbranch_vccnz .LBB8_525
; %bb.524:
	global_load_dword v2, v[0:1], off
	s_waitcnt vmcnt(0)
	v_cvt_f64_i32_e32 v[2:3], v2
.LBB8_525:
	s_mov_b32 s16, 0
.LBB8_526:
	s_andn2_b32 vcc_lo, exec_lo, s16
	s_cbranch_vccnz .LBB8_528
; %bb.527:
	global_load_sshort v2, v[0:1], off
	s_waitcnt vmcnt(0)
	v_cvt_f64_i32_e32 v[2:3], v2
.LBB8_528:
	s_mov_b32 s16, 0
.LBB8_529:
	s_andn2_b32 vcc_lo, exec_lo, s16
	s_cbranch_vccnz .LBB8_535
; %bb.530:
	s_cmp_gt_i32 s0, 0
	s_mov_b32 s0, 0
	s_cbranch_scc0 .LBB8_532
; %bb.531:
	global_load_sbyte v2, v[0:1], off
	s_waitcnt vmcnt(0)
	v_cvt_f64_i32_e32 v[2:3], v2
	s_branch .LBB8_533
.LBB8_532:
	s_mov_b32 s0, -1
                                        ; implicit-def: $vgpr2_vgpr3
.LBB8_533:
	s_andn2_b32 vcc_lo, exec_lo, s0
	s_cbranch_vccnz .LBB8_535
; %bb.534:
	global_load_ubyte v0, v[0:1], off
	s_waitcnt vmcnt(0)
	v_cvt_f64_u32_e32 v[2:3], v0
.LBB8_535:
	s_branch .LBB8_278
.LBB8_536:
	s_mov_b32 s18, 0
	s_mov_b32 s0, s7
.LBB8_537:
                                        ; implicit-def: $vgpr14
.LBB8_538:
	s_andn2_b32 s16, s7, exec_lo
	s_and_b32 s0, s0, exec_lo
	s_andn2_b32 s19, s13, exec_lo
	s_and_b32 s15, s15, exec_lo
	s_or_b32 s16, s16, s0
	s_or_b32 s15, s19, s15
	s_orn2_b32 s0, s18, exec_lo
.LBB8_539:
	s_or_b32 exec_lo, exec_lo, s17
	s_mov_b32 s18, 0
	s_mov_b32 s19, 0
	;; [unrolled: 1-line block ×3, first 2 shown]
                                        ; implicit-def: $vgpr0_vgpr1
                                        ; implicit-def: $vgpr2_vgpr3
	s_and_saveexec_b32 s17, s0
	s_cbranch_execz .LBB8_898
; %bb.540:
	s_mov_b32 s20, -1
	s_mov_b32 s0, s15
	s_mov_b32 s19, s16
	s_mov_b32 s18, exec_lo
	v_cmpx_gt_i32_e64 s12, v14
	s_cbranch_execz .LBB8_812
; %bb.541:
	v_mul_lo_u32 v0, v14, s3
	s_and_b32 s0, 0xffff, s5
	s_cmp_lt_i32 s0, 11
	v_ashrrev_i32_e32 v1, 31, v0
	v_add_co_u32 v0, vcc_lo, s10, v0
	v_add_co_ci_u32_e64 v1, null, s11, v1, vcc_lo
	s_cbranch_scc1 .LBB8_548
; %bb.542:
	s_cmp_gt_i32 s0, 25
	s_cbranch_scc0 .LBB8_549
; %bb.543:
	s_cmp_gt_i32 s0, 28
	s_cbranch_scc0 .LBB8_550
	;; [unrolled: 3-line block ×4, first 2 shown]
; %bb.546:
	s_cmp_eq_u32 s0, 46
	s_mov_b32 s21, 0
	s_cbranch_scc0 .LBB8_557
; %bb.547:
	global_load_dword v2, v[0:1], off
	s_mov_b32 s19, 0
	s_waitcnt vmcnt(0)
	v_lshlrev_b32_e32 v2, 16, v2
	v_cvt_f64_f32_e32 v[2:3], v2
	s_branch .LBB8_559
.LBB8_548:
	s_mov_b32 s21, -1
	s_mov_b32 s20, 0
	s_mov_b32 s19, s15
                                        ; implicit-def: $vgpr2_vgpr3
	s_branch .LBB8_624
.LBB8_549:
	s_mov_b32 s21, -1
	s_mov_b32 s20, 0
	s_mov_b32 s19, s15
                                        ; implicit-def: $vgpr2_vgpr3
	s_branch .LBB8_590
.LBB8_550:
	s_mov_b32 s21, -1
	s_mov_b32 s20, 0
	s_mov_b32 s19, s15
                                        ; implicit-def: $vgpr2_vgpr3
	s_branch .LBB8_569
.LBB8_551:
	s_mov_b32 s21, -1
	s_mov_b32 s20, 0
	s_mov_b32 s19, s15
                                        ; implicit-def: $vgpr2_vgpr3
	s_branch .LBB8_564
.LBB8_552:
	s_andn2_saveexec_b32 s21, s21
	s_cbranch_execz .LBB8_336
.LBB8_553:
	v_add_f32_e64 v3, 0x46000000, |v2|
	s_andn2_b32 s20, s20, exec_lo
	v_and_b32_e32 v3, 0xff, v3
	v_cmp_ne_u32_e32 vcc_lo, 0, v3
	s_and_b32 s22, vcc_lo, exec_lo
	s_or_b32 s20, s20, s22
	s_or_b32 exec_lo, exec_lo, s21
	v_mov_b32_e32 v6, 0
	s_and_saveexec_b32 s21, s20
	s_cbranch_execnz .LBB8_337
	s_branch .LBB8_338
.LBB8_554:
	s_mov_b32 s21, -1
	s_mov_b32 s20, 0
	s_mov_b32 s19, s15
	s_branch .LBB8_558
.LBB8_555:
	s_andn2_saveexec_b32 s21, s21
	s_cbranch_execz .LBB8_349
.LBB8_556:
	v_add_f32_e64 v3, 0x42800000, |v2|
	s_andn2_b32 s20, s20, exec_lo
	v_and_b32_e32 v3, 0xff, v3
	v_cmp_ne_u32_e32 vcc_lo, 0, v3
	s_and_b32 s22, vcc_lo, exec_lo
	s_or_b32 s20, s20, s22
	s_or_b32 exec_lo, exec_lo, s21
	v_mov_b32_e32 v6, 0
	s_and_saveexec_b32 s21, s20
	s_cbranch_execnz .LBB8_350
	s_branch .LBB8_351
.LBB8_557:
	s_mov_b32 s19, -1
	s_mov_b32 s20, 0
.LBB8_558:
                                        ; implicit-def: $vgpr2_vgpr3
.LBB8_559:
	s_and_b32 vcc_lo, exec_lo, s21
	s_cbranch_vccz .LBB8_563
; %bb.560:
	s_cmp_eq_u32 s0, 44
	s_cbranch_scc0 .LBB8_562
; %bb.561:
	global_load_ubyte v4, v[0:1], off
	s_mov_b32 s19, 0
	s_mov_b32 s20, -1
	s_waitcnt vmcnt(0)
	v_lshlrev_b32_e32 v2, 23, v4
	v_cmp_ne_u32_e32 vcc_lo, 0xff, v4
	v_cvt_f64_f32_e32 v[2:3], v2
	v_cndmask_b32_e32 v2, 0x20000000, v2, vcc_lo
	v_cndmask_b32_e32 v3, 0x7ff80000, v3, vcc_lo
	v_cmp_ne_u32_e32 vcc_lo, 0, v4
	v_cndmask_b32_e32 v3, 0x38000000, v3, vcc_lo
	v_cndmask_b32_e32 v2, 0, v2, vcc_lo
	s_branch .LBB8_563
.LBB8_562:
	s_mov_b32 s19, -1
                                        ; implicit-def: $vgpr2_vgpr3
.LBB8_563:
	s_mov_b32 s21, 0
.LBB8_564:
	s_and_b32 vcc_lo, exec_lo, s21
	s_cbranch_vccz .LBB8_568
; %bb.565:
	s_cmp_eq_u32 s0, 29
	s_cbranch_scc0 .LBB8_567
; %bb.566:
	global_load_dwordx2 v[2:3], v[0:1], off
	s_mov_b32 s20, -1
	s_mov_b32 s19, 0
	s_mov_b32 s21, 0
	s_waitcnt vmcnt(0)
	v_cvt_f64_u32_e32 v[3:4], v3
	v_cvt_f64_u32_e32 v[5:6], v2
	v_ldexp_f64 v[3:4], v[3:4], 32
	v_add_f64 v[2:3], v[3:4], v[5:6]
	s_branch .LBB8_569
.LBB8_567:
	s_mov_b32 s19, -1
                                        ; implicit-def: $vgpr2_vgpr3
.LBB8_568:
	s_mov_b32 s21, 0
.LBB8_569:
	s_and_b32 vcc_lo, exec_lo, s21
	s_cbranch_vccz .LBB8_589
; %bb.570:
	s_cmp_lt_i32 s0, 27
	s_cbranch_scc1 .LBB8_573
; %bb.571:
	s_cmp_gt_i32 s0, 27
	s_cbranch_scc0 .LBB8_574
; %bb.572:
	global_load_dword v2, v[0:1], off
	s_mov_b32 s20, 0
	s_waitcnt vmcnt(0)
	v_cvt_f64_u32_e32 v[2:3], v2
	s_branch .LBB8_575
.LBB8_573:
	s_mov_b32 s20, -1
                                        ; implicit-def: $vgpr2_vgpr3
	s_branch .LBB8_578
.LBB8_574:
	s_mov_b32 s20, -1
                                        ; implicit-def: $vgpr2_vgpr3
.LBB8_575:
	s_andn2_b32 vcc_lo, exec_lo, s20
	s_cbranch_vccnz .LBB8_577
; %bb.576:
	global_load_ushort v2, v[0:1], off
	s_waitcnt vmcnt(0)
	v_cvt_f64_u32_e32 v[2:3], v2
.LBB8_577:
	s_mov_b32 s20, 0
.LBB8_578:
	s_andn2_b32 vcc_lo, exec_lo, s20
	s_cbranch_vccnz .LBB8_588
; %bb.579:
	global_load_ubyte v4, v[0:1], off
	s_mov_b32 s20, 0
	s_mov_b32 s21, exec_lo
	s_waitcnt vmcnt(0)
	v_cmpx_lt_i16_e32 0x7f, v4
	s_xor_b32 s21, exec_lo, s21
	s_cbranch_execz .LBB8_583
; %bb.580:
	s_mov_b32 s20, -1
	s_mov_b32 s22, exec_lo
	v_cmpx_eq_u16_e32 0x80, v4
; %bb.581:
	s_xor_b32 s20, exec_lo, -1
; %bb.582:
	s_or_b32 exec_lo, exec_lo, s22
	s_and_b32 s20, s20, exec_lo
.LBB8_583:
	s_or_saveexec_b32 s21, s21
	v_bfrev_b32_e32 v2, 4
	v_mov_b32_e32 v3, 0x7ff80000
	s_xor_b32 exec_lo, exec_lo, s21
; %bb.584:
	v_cmp_ne_u16_e32 vcc_lo, 0, v4
	v_mov_b32_e32 v2, 0
	v_mov_b32_e32 v3, 0
	s_andn2_b32 s20, s20, exec_lo
	s_and_b32 s22, vcc_lo, exec_lo
	s_or_b32 s20, s20, s22
; %bb.585:
	s_or_b32 exec_lo, exec_lo, s21
	s_and_saveexec_b32 s21, s20
	s_cbranch_execz .LBB8_587
; %bb.586:
	v_and_b32_e32 v2, 0xffff, v4
	v_lshlrev_b32_e32 v4, 24, v4
	v_and_b32_e32 v3, 7, v2
	v_bfe_u32 v7, v2, 3, 4
	v_ffbh_u32_e32 v5, v3
	v_cmp_eq_u32_e32 vcc_lo, 0, v7
	v_min_u32_e32 v5, 32, v5
	v_subrev_nc_u32_e32 v6, 28, v5
	v_sub_nc_u32_e32 v5, 29, v5
	v_lshlrev_b32_e32 v2, v6, v2
	v_cndmask_b32_e32 v5, v7, v5, vcc_lo
	v_and_b32_e32 v2, 7, v2
	v_cndmask_b32_e32 v2, v3, v2, vcc_lo
	v_and_b32_e32 v3, 0x80000000, v4
	v_lshl_add_u32 v4, v5, 23, 0x3b800000
	v_lshlrev_b32_e32 v2, 20, v2
	v_or3_b32 v2, v3, v4, v2
	v_cvt_f64_f32_e32 v[2:3], v2
.LBB8_587:
	s_or_b32 exec_lo, exec_lo, s21
.LBB8_588:
	s_mov_b32 s20, -1
.LBB8_589:
	s_mov_b32 s21, 0
.LBB8_590:
	s_and_b32 vcc_lo, exec_lo, s21
	s_cbranch_vccz .LBB8_623
; %bb.591:
	s_cmp_gt_i32 s0, 22
	s_cbranch_scc0 .LBB8_603
; %bb.592:
	s_cmp_lt_i32 s0, 24
	s_cbranch_scc1 .LBB8_604
; %bb.593:
	s_cmp_gt_i32 s0, 24
	s_cbranch_scc0 .LBB8_605
; %bb.594:
	global_load_ubyte v4, v[0:1], off
	s_mov_b32 s20, 0
	s_mov_b32 s21, exec_lo
	s_waitcnt vmcnt(0)
	v_cmpx_lt_i16_e32 0x7f, v4
	s_xor_b32 s21, exec_lo, s21
	s_cbranch_execz .LBB8_598
; %bb.595:
	s_mov_b32 s20, -1
	s_mov_b32 s22, exec_lo
	v_cmpx_eq_u16_e32 0x80, v4
; %bb.596:
	s_xor_b32 s20, exec_lo, -1
; %bb.597:
	s_or_b32 exec_lo, exec_lo, s22
	s_and_b32 s20, s20, exec_lo
.LBB8_598:
	s_or_saveexec_b32 s21, s21
	v_bfrev_b32_e32 v2, 4
	v_mov_b32_e32 v3, 0x7ff80000
	s_xor_b32 exec_lo, exec_lo, s21
; %bb.599:
	v_cmp_ne_u16_e32 vcc_lo, 0, v4
	v_mov_b32_e32 v2, 0
	v_mov_b32_e32 v3, 0
	s_andn2_b32 s20, s20, exec_lo
	s_and_b32 s22, vcc_lo, exec_lo
	s_or_b32 s20, s20, s22
; %bb.600:
	s_or_b32 exec_lo, exec_lo, s21
	s_and_saveexec_b32 s21, s20
	s_cbranch_execz .LBB8_602
; %bb.601:
	v_and_b32_e32 v2, 0xffff, v4
	v_lshlrev_b32_e32 v4, 24, v4
	v_and_b32_e32 v3, 3, v2
	v_bfe_u32 v7, v2, 2, 5
	v_ffbh_u32_e32 v5, v3
	v_cmp_eq_u32_e32 vcc_lo, 0, v7
	v_min_u32_e32 v5, 32, v5
	v_subrev_nc_u32_e32 v6, 29, v5
	v_sub_nc_u32_e32 v5, 30, v5
	v_lshlrev_b32_e32 v2, v6, v2
	v_cndmask_b32_e32 v5, v7, v5, vcc_lo
	v_and_b32_e32 v2, 3, v2
	v_cndmask_b32_e32 v2, v3, v2, vcc_lo
	v_and_b32_e32 v3, 0x80000000, v4
	v_lshl_add_u32 v4, v5, 23, 0x37800000
	v_lshlrev_b32_e32 v2, 21, v2
	v_or3_b32 v2, v3, v4, v2
	v_cvt_f64_f32_e32 v[2:3], v2
.LBB8_602:
	s_or_b32 exec_lo, exec_lo, s21
	s_mov_b32 s20, 0
	s_branch .LBB8_606
.LBB8_603:
	s_mov_b32 s21, -1
                                        ; implicit-def: $vgpr2_vgpr3
	s_branch .LBB8_612
.LBB8_604:
	s_mov_b32 s20, -1
                                        ; implicit-def: $vgpr2_vgpr3
	s_branch .LBB8_609
.LBB8_605:
	s_mov_b32 s20, -1
                                        ; implicit-def: $vgpr2_vgpr3
.LBB8_606:
	s_and_b32 vcc_lo, exec_lo, s20
	s_cbranch_vccz .LBB8_608
; %bb.607:
	global_load_ubyte v2, v[0:1], off
	s_waitcnt vmcnt(0)
	v_lshlrev_b32_e32 v2, 24, v2
	v_and_b32_e32 v3, 0x7f000000, v2
	v_ffbh_u32_e32 v4, v3
	v_add_nc_u32_e32 v6, 0x1000000, v3
	v_cmp_ne_u32_e32 vcc_lo, 0, v3
	v_min_u32_e32 v4, 32, v4
	v_sub_nc_u32_e64 v4, v4, 4 clamp
	v_lshlrev_b32_e32 v5, v4, v3
	v_lshlrev_b32_e32 v4, 23, v4
	v_lshrrev_b32_e32 v5, 4, v5
	v_sub_nc_u32_e32 v4, v5, v4
	v_ashrrev_i32_e32 v5, 8, v6
	v_add_nc_u32_e32 v4, 0x3c000000, v4
	v_and_or_b32 v4, 0x7f800000, v5, v4
	v_cndmask_b32_e32 v3, 0, v4, vcc_lo
	v_and_or_b32 v2, 0x80000000, v2, v3
	v_cvt_f64_f32_e32 v[2:3], v2
.LBB8_608:
	s_mov_b32 s20, 0
.LBB8_609:
	s_andn2_b32 vcc_lo, exec_lo, s20
	s_cbranch_vccnz .LBB8_611
; %bb.610:
	global_load_ubyte v2, v[0:1], off
	s_waitcnt vmcnt(0)
	v_lshlrev_b32_e32 v3, 25, v2
	v_lshlrev_b16 v2, 8, v2
	v_lshrrev_b32_e32 v4, 4, v3
	v_and_or_b32 v5, 0x7f00, v2, 0.5
	v_cmp_gt_u32_e32 vcc_lo, 0x8000000, v3
	v_bfe_i32 v2, v2, 0, 16
	v_or_b32_e32 v4, 0x70000000, v4
	v_add_f32_e32 v5, -0.5, v5
	v_mul_f32_e32 v4, 0x7800000, v4
	v_cndmask_b32_e32 v3, v4, v5, vcc_lo
	v_and_or_b32 v2, 0x80000000, v2, v3
	v_cvt_f64_f32_e32 v[2:3], v2
.LBB8_611:
	s_mov_b32 s21, 0
	s_mov_b32 s20, -1
.LBB8_612:
	s_andn2_b32 vcc_lo, exec_lo, s21
	s_cbranch_vccnz .LBB8_623
; %bb.613:
	s_cmp_gt_i32 s0, 14
	s_cbranch_scc0 .LBB8_616
; %bb.614:
	s_cmp_eq_u32 s0, 15
	s_cbranch_scc0 .LBB8_617
; %bb.615:
	global_load_ushort v2, v[0:1], off
	s_mov_b32 s20, -1
	s_mov_b32 s19, 0
	s_waitcnt vmcnt(0)
	v_lshlrev_b32_e32 v2, 16, v2
	v_cvt_f64_f32_e32 v[2:3], v2
	s_branch .LBB8_618
.LBB8_616:
	s_mov_b32 s21, -1
                                        ; implicit-def: $vgpr2_vgpr3
	s_branch .LBB8_619
.LBB8_617:
	s_mov_b32 s19, -1
                                        ; implicit-def: $vgpr2_vgpr3
.LBB8_618:
	s_mov_b32 s21, 0
.LBB8_619:
	s_and_b32 vcc_lo, exec_lo, s21
	s_cbranch_vccz .LBB8_623
; %bb.620:
	s_cmp_eq_u32 s0, 11
	s_cbranch_scc0 .LBB8_622
; %bb.621:
	global_load_ubyte v2, v[0:1], off
	s_mov_b32 s19, 0
	s_mov_b32 s20, -1
	s_waitcnt vmcnt(0)
	v_cmp_ne_u16_e32 vcc_lo, 0, v2
	v_mov_b32_e32 v2, 0
	v_cndmask_b32_e64 v3, 0, 0x3ff00000, vcc_lo
	s_branch .LBB8_623
.LBB8_622:
	s_mov_b32 s19, -1
                                        ; implicit-def: $vgpr2_vgpr3
.LBB8_623:
	s_mov_b32 s21, 0
.LBB8_624:
	s_and_b32 vcc_lo, exec_lo, s21
	s_cbranch_vccz .LBB8_673
; %bb.625:
	s_cmp_lt_i32 s0, 5
	s_cbranch_scc1 .LBB8_630
; %bb.626:
	s_cmp_lt_i32 s0, 8
	s_cbranch_scc1 .LBB8_631
	;; [unrolled: 3-line block ×3, first 2 shown]
; %bb.628:
	s_cmp_gt_i32 s0, 9
	s_cbranch_scc0 .LBB8_633
; %bb.629:
	global_load_dwordx2 v[2:3], v[0:1], off
	s_mov_b32 s20, 0
	s_branch .LBB8_634
.LBB8_630:
	s_mov_b32 s20, -1
                                        ; implicit-def: $vgpr2_vgpr3
	s_branch .LBB8_652
.LBB8_631:
	s_mov_b32 s20, -1
                                        ; implicit-def: $vgpr2_vgpr3
	s_branch .LBB8_640
.LBB8_632:
	s_mov_b32 s20, -1
                                        ; implicit-def: $vgpr2_vgpr3
	s_branch .LBB8_637
.LBB8_633:
	s_mov_b32 s20, -1
                                        ; implicit-def: $vgpr2_vgpr3
.LBB8_634:
	s_andn2_b32 vcc_lo, exec_lo, s20
	s_cbranch_vccnz .LBB8_636
; %bb.635:
	global_load_dword v2, v[0:1], off
	s_waitcnt vmcnt(0)
	v_cvt_f64_f32_e32 v[2:3], v2
.LBB8_636:
	s_mov_b32 s20, 0
.LBB8_637:
	s_andn2_b32 vcc_lo, exec_lo, s20
	s_cbranch_vccnz .LBB8_639
; %bb.638:
	global_load_dword v2, v[0:1], off
	s_waitcnt vmcnt(0)
	v_cvt_f32_f16_e32 v2, v2
	v_cvt_f64_f32_e32 v[2:3], v2
.LBB8_639:
	s_mov_b32 s20, 0
.LBB8_640:
	s_andn2_b32 vcc_lo, exec_lo, s20
	s_cbranch_vccnz .LBB8_651
; %bb.641:
	s_cmp_lt_i32 s0, 6
	s_cbranch_scc1 .LBB8_644
; %bb.642:
	s_cmp_gt_i32 s0, 6
	s_cbranch_scc0 .LBB8_645
; %bb.643:
	global_load_dwordx2 v[2:3], v[0:1], off
	s_mov_b32 s20, 0
	s_branch .LBB8_646
.LBB8_644:
	s_mov_b32 s20, -1
                                        ; implicit-def: $vgpr2_vgpr3
	s_branch .LBB8_649
.LBB8_645:
	s_mov_b32 s20, -1
                                        ; implicit-def: $vgpr2_vgpr3
.LBB8_646:
	s_andn2_b32 vcc_lo, exec_lo, s20
	s_cbranch_vccnz .LBB8_648
; %bb.647:
	global_load_dword v2, v[0:1], off
	s_waitcnt vmcnt(0)
	v_cvt_f64_f32_e32 v[2:3], v2
.LBB8_648:
	s_mov_b32 s20, 0
.LBB8_649:
	s_andn2_b32 vcc_lo, exec_lo, s20
	s_cbranch_vccnz .LBB8_651
; %bb.650:
	global_load_ushort v2, v[0:1], off
	s_waitcnt vmcnt(0)
	v_cvt_f32_f16_e32 v2, v2
	v_cvt_f64_f32_e32 v[2:3], v2
.LBB8_651:
	s_mov_b32 s20, 0
.LBB8_652:
	s_andn2_b32 vcc_lo, exec_lo, s20
	s_cbranch_vccnz .LBB8_672
; %bb.653:
	s_cmp_lt_i32 s0, 2
	s_cbranch_scc1 .LBB8_657
; %bb.654:
	s_cmp_lt_i32 s0, 3
	s_cbranch_scc1 .LBB8_658
; %bb.655:
	s_cmp_gt_i32 s0, 3
	s_cbranch_scc0 .LBB8_659
; %bb.656:
	global_load_dwordx2 v[2:3], v[0:1], off
	s_mov_b32 s20, 0
	s_waitcnt vmcnt(0)
	v_cvt_f64_i32_e32 v[3:4], v3
	v_cvt_f64_u32_e32 v[5:6], v2
	v_ldexp_f64 v[3:4], v[3:4], 32
	v_add_f64 v[2:3], v[3:4], v[5:6]
	s_branch .LBB8_660
.LBB8_657:
	s_mov_b32 s20, -1
                                        ; implicit-def: $vgpr2_vgpr3
	s_branch .LBB8_666
.LBB8_658:
	s_mov_b32 s20, -1
                                        ; implicit-def: $vgpr2_vgpr3
	s_branch .LBB8_663
.LBB8_659:
	s_mov_b32 s20, -1
                                        ; implicit-def: $vgpr2_vgpr3
.LBB8_660:
	s_andn2_b32 vcc_lo, exec_lo, s20
	s_cbranch_vccnz .LBB8_662
; %bb.661:
	global_load_dword v2, v[0:1], off
	s_waitcnt vmcnt(0)
	v_cvt_f64_i32_e32 v[2:3], v2
.LBB8_662:
	s_mov_b32 s20, 0
.LBB8_663:
	s_andn2_b32 vcc_lo, exec_lo, s20
	s_cbranch_vccnz .LBB8_665
; %bb.664:
	global_load_sshort v2, v[0:1], off
	s_waitcnt vmcnt(0)
	v_cvt_f64_i32_e32 v[2:3], v2
.LBB8_665:
	s_mov_b32 s20, 0
.LBB8_666:
	s_andn2_b32 vcc_lo, exec_lo, s20
	s_cbranch_vccnz .LBB8_672
; %bb.667:
	s_cmp_gt_i32 s0, 0
	s_mov_b32 s0, 0
	s_cbranch_scc0 .LBB8_669
; %bb.668:
	global_load_sbyte v2, v[0:1], off
	s_waitcnt vmcnt(0)
	v_cvt_f64_i32_e32 v[2:3], v2
	s_branch .LBB8_670
.LBB8_669:
	s_mov_b32 s0, -1
                                        ; implicit-def: $vgpr2_vgpr3
.LBB8_670:
	s_andn2_b32 vcc_lo, exec_lo, s0
	s_cbranch_vccnz .LBB8_672
; %bb.671:
	global_load_ubyte v0, v[0:1], off
	s_waitcnt vmcnt(0)
	v_cvt_f64_u32_e32 v[2:3], v0
.LBB8_672:
	s_mov_b32 s20, -1
.LBB8_673:
	s_andn2_b32 vcc_lo, exec_lo, s20
	s_cbranch_vccnz .LBB8_693
; %bb.674:
	s_waitcnt vmcnt(0)
	v_cmp_ge_f64_e64 s0, 0x40200000, |v[2:3]|
                                        ; implicit-def: $vgpr0_vgpr1
	s_and_saveexec_b32 s20, s0
	s_xor_b32 s0, exec_lo, s20
	s_cbranch_execz .LBB8_680
; %bb.675:
	v_fma_f64 v[0:1], |v[2:3]|, 0.5, -2.0
	s_mov_b32 s20, 0xc38a0576
	s_mov_b32 s21, 0xbc7857d0
	;; [unrolled: 1-line block ×4, first 2 shown]
	v_fma_f64 v[4:5], v[0:1], s[22:23], s[20:21]
	s_mov_b32 s23, 0xbc499f2a
	s_mov_b32 s20, 0xe593bfac
	;; [unrolled: 1-line block ×3, first 2 shown]
	v_fma_f64 v[6:7], v[0:1], v[4:5], s[22:23]
	s_mov_b32 s22, 0x3b39803f
	s_mov_b32 s23, 0xbc7abc9e
	v_add_f64 v[6:7], v[6:7], s[20:21]
	s_mov_b32 s20, 0x7e0d1573
	s_mov_b32 s21, 0xbcd3eaaa
	v_fma_f64 v[4:5], v[0:1], v[6:7], -v[4:5]
	v_add_f64 v[4:5], v[4:5], s[20:21]
	s_mov_b32 s20, 0x615290c
	s_mov_b32 s21, 0x3d011d7f
	v_fma_f64 v[6:7], v[0:1], v[4:5], -v[6:7]
	;; [unrolled: 4-line block ×20, first 2 shown]
	v_add_f64 v[6:7], v[6:7], s[20:21]
	s_mov_b32 s20, 0x652b82fe
	s_mov_b32 s21, 0x3ff71547
	v_mul_f64 v[8:9], |v[2:3]|, s[20:21]
	s_mov_b32 s20, 0x7913a26a
	s_mov_b32 s21, 0xbf85a29f
	v_fma_f64 v[4:5], v[0:1], v[6:7], -v[4:5]
	v_rndne_f64_e32 v[8:9], v[8:9]
	v_add_f64 v[4:5], v[4:5], s[20:21]
	s_mov_b32 s20, 0xfefa39ef
	s_mov_b32 s21, 0xbfe62e42
	v_fma_f64 v[10:11], v[8:9], s[20:21], |v[2:3]|
	s_mov_b32 s20, 0xe7bb2349
	s_mov_b32 s21, 0x3f9951e3
	v_fma_f64 v[6:7], v[0:1], v[4:5], -v[6:7]
	v_fma_f64 v[10:11], v[8:9], s[22:23], v[10:11]
	s_mov_b32 s22, 0x6a5dcb37
	s_mov_b32 s23, 0x3e5ade15
	v_cvt_i32_f64_e32 v8, v[8:9]
	v_add_f64 v[6:7], v[6:7], s[20:21]
	s_mov_b32 s20, 0xfca7ab0c
	s_mov_b32 s21, 0x3e928af3
	v_fma_f64 v[12:13], v[10:11], s[22:23], s[20:21]
	s_mov_b32 s20, 0x537c9ebc
	s_mov_b32 s22, 0x623fde64
	;; [unrolled: 1-line block ×4, first 2 shown]
	v_fma_f64 v[4:5], v[0:1], v[6:7], -v[4:5]
	v_fma_f64 v[12:13], v[10:11], v[12:13], s[22:23]
	s_mov_b32 s22, 0x14761f6e
	s_mov_b32 s23, 0x3f2a01a0
	v_add_f64 v[4:5], v[4:5], s[20:21]
	s_mov_b32 s20, 0x7c89e6b0
	s_mov_b32 s21, 0x3efa0199
	v_fma_f64 v[12:13], v[10:11], v[12:13], s[20:21]
	s_mov_b32 s20, 0xd536f53c
	s_mov_b32 s21, 0x3fba46da
	v_fma_f64 v[6:7], v[0:1], v[4:5], -v[6:7]
	v_fma_f64 v[12:13], v[10:11], v[12:13], s[22:23]
	s_mov_b32 s22, 0x11122322
	s_mov_b32 s23, 0x3f811111
	v_add_f64 v[6:7], v[6:7], s[20:21]
	s_mov_b32 s20, 0x1852b7b0
	s_mov_b32 s21, 0x3f56c16c
	v_fma_f64 v[12:13], v[10:11], v[12:13], s[20:21]
	s_mov_b32 s20, 0x469192e
	s_mov_b32 s21, 0xbfc694d1
	;; [unrolled: 10-line block ×3, first 2 shown]
	v_fma_f64 v[0:1], v[0:1], v[4:5], -v[6:7]
	v_fma_f64 v[4:5], v[10:11], v[12:13], s[22:23]
	v_add_f64 v[0:1], v[0:1], s[20:21]
	s_mov_b32 s20, 11
	s_mov_b32 s21, 0x3fe00000
	v_fma_f64 v[4:5], v[10:11], v[4:5], s[20:21]
	s_mov_b32 s20, exec_lo
	v_add_f64 v[0:1], v[0:1], -v[6:7]
	v_fma_f64 v[4:5], v[10:11], v[4:5], 1.0
	v_mul_f64 v[0:1], v[0:1], 0.5
	v_fma_f64 v[6:7], v[10:11], v[4:5], 1.0
	v_mul_f64 v[4:5], |v[2:3]|, v[0:1]
                                        ; implicit-def: $vgpr0_vgpr1
	v_cmpx_ngt_f64_e32 0, v[2:3]
	s_xor_b32 s20, exec_lo, s20
	s_cbranch_execz .LBB8_677
; %bb.676:
	v_ldexp_f64 v[0:1], v[6:7], v8
	v_cmp_nlt_f64_e64 vcc_lo, 0x40900000, |v[2:3]|
                                        ; implicit-def: $vgpr6_vgpr7
                                        ; implicit-def: $vgpr8
                                        ; implicit-def: $vgpr2_vgpr3
	v_cndmask_b32_e32 v1, 0x7ff00000, v1, vcc_lo
	v_cndmask_b32_e32 v0, 0, v0, vcc_lo
	v_mul_f64 v[0:1], v[0:1], v[4:5]
                                        ; implicit-def: $vgpr4_vgpr5
.LBB8_677:
	s_andn2_saveexec_b32 s20, s20
	s_cbranch_execz .LBB8_679
; %bb.678:
	v_ldexp_f64 v[0:1], -v[6:7], v8
	v_cmp_nlt_f64_e64 vcc_lo, 0x40900000, |v[2:3]|
	v_cndmask_b32_e32 v1, 0xfff00000, v1, vcc_lo
	v_cndmask_b32_e32 v0, 0, v0, vcc_lo
	v_mul_f64 v[0:1], v[0:1], v[4:5]
.LBB8_679:
	s_or_b32 exec_lo, exec_lo, s20
                                        ; implicit-def: $vgpr2_vgpr3
.LBB8_680:
	s_andn2_saveexec_b32 s20, s0
	s_cbranch_execz .LBB8_686
; %bb.681:
	v_and_b32_e32 v1, 0x7fffffff, v3
	v_mov_b32_e32 v0, v2
	s_mov_b32 s22, 0xea87b950
	s_mov_b32 s23, 0x3c545b8a
	;; [unrolled: 1-line block ×4, first 2 shown]
	v_div_scale_f64 v[4:5], null, v[0:1], v[0:1], 0x40400000
	v_div_scale_f64 v[0:1], vcc_lo, 0x40400000, v[0:1], 0x40400000
	v_cmp_ngt_f64_e64 s0, 0, v[2:3]
	v_rcp_f64_e32 v[6:7], v[4:5]
	v_fma_f64 v[8:9], -v[4:5], v[6:7], 1.0
	v_fma_f64 v[6:7], v[6:7], v[8:9], v[6:7]
	v_fma_f64 v[8:9], -v[4:5], v[6:7], 1.0
	v_fma_f64 v[6:7], v[6:7], v[8:9], v[6:7]
	v_mul_f64 v[8:9], v[0:1], v[6:7]
	v_fma_f64 v[0:1], -v[4:5], v[8:9], v[0:1]
	v_div_fmas_f64 v[0:1], v[0:1], v[6:7], v[8:9]
	v_cmp_nlt_f64_e64 vcc_lo, 0x40900000, |v[2:3]|
	v_div_fixup_f64 v[0:1], v[0:1], |v[2:3]|, 0x40400000
	v_add_f64 v[0:1], v[0:1], -2.0
	v_fma_f64 v[4:5], v[0:1], s[24:25], s[22:23]
	s_mov_b32 s25, 0xbc61556d
	s_mov_b32 s22, 0xb2532277
	;; [unrolled: 1-line block ×3, first 2 shown]
	v_fma_f64 v[6:7], v[0:1], v[4:5], s[24:25]
	s_mov_b32 s24, 0x6a5dcb37
	s_mov_b32 s25, 0x3e5ade15
	v_add_f64 v[6:7], v[6:7], s[22:23]
	s_mov_b32 s22, 0x9c773320
	s_mov_b32 s23, 0xbc82806c
	v_fma_f64 v[4:5], v[0:1], v[6:7], -v[4:5]
	v_add_f64 v[4:5], v[4:5], s[22:23]
	s_mov_b32 s22, 0xfceb588a
	s_mov_b32 s23, 0x3cb55915
	v_fma_f64 v[6:7], v[0:1], v[4:5], -v[6:7]
	;; [unrolled: 4-line block ×14, first 2 shown]
	v_add_f64 v[6:7], v[6:7], s[22:23]
	s_mov_b32 s22, 0x652b82fe
	s_mov_b32 s23, 0x3ff71547
	v_mul_f64 v[8:9], |v[2:3]|, s[22:23]
	s_mov_b32 s22, 0x5423dd80
	s_mov_b32 s23, 0xbe0334ca
	v_fma_f64 v[4:5], v[0:1], v[6:7], -v[4:5]
	v_rndne_f64_e32 v[8:9], v[8:9]
	v_add_f64 v[4:5], v[4:5], s[22:23]
	s_mov_b32 s22, 0xfefa39ef
	s_mov_b32 s23, 0xbfe62e42
	v_fma_f64 v[10:11], v[8:9], s[22:23], |v[2:3]|
	s_mov_b32 s22, 0x9ad53528
	s_mov_b32 s23, 0xbe30790b
	v_fma_f64 v[6:7], v[0:1], v[4:5], -v[6:7]
	v_add_f64 v[6:7], v[6:7], s[22:23]
	s_mov_b32 s22, 0x3b39803f
	s_mov_b32 s23, 0xbc7abc9e
	v_fma_f64 v[10:11], v[8:9], s[22:23], v[10:11]
	s_mov_b32 s22, 0xfca7ab0c
	s_mov_b32 s23, 0x3e928af3
	v_cvt_i32_f64_e32 v8, v[8:9]
	v_fma_f64 v[4:5], v[0:1], v[6:7], -v[4:5]
	v_fma_f64 v[12:13], v[10:11], s[24:25], s[22:23]
	s_mov_b32 s22, 0x94bb46c1
	s_mov_b32 s23, 0xbe5c4153
	v_add_f64 v[4:5], v[4:5], s[22:23]
	s_mov_b32 s22, 0x623fde64
	s_mov_b32 s23, 0x3ec71dee
	v_fma_f64 v[12:13], v[10:11], v[12:13], s[22:23]
	s_mov_b32 s22, 0x7c89e6b0
	s_mov_b32 s23, 0x3efa0199
	v_fma_f64 v[6:7], v[0:1], v[4:5], -v[6:7]
	v_fma_f64 v[12:13], v[10:11], v[12:13], s[22:23]
	s_mov_b32 s22, 0x2e9e5443
	s_mov_b32 s23, 0xbe90dbfd
	v_add_f64 v[6:7], v[6:7], s[22:23]
	s_mov_b32 s22, 0x14761f6e
	s_mov_b32 s23, 0x3f2a01a0
	v_fma_f64 v[12:13], v[10:11], v[12:13], s[22:23]
	s_mov_b32 s22, 0x1852b7b0
	s_mov_b32 s23, 0x3f56c16c
	;; [unrolled: 10-line block ×4, first 2 shown]
	v_fma_f64 v[4:5], v[0:1], v[6:7], -v[4:5]
	v_fma_f64 v[12:13], v[10:11], v[12:13], s[22:23]
	s_mov_b32 s22, 0x53fcdb4c
	s_mov_b32 s23, 0xbf83fda0
	v_add_f64 v[4:5], v[4:5], s[22:23]
	s_mov_b32 s22, 0xb55b1514
	s_mov_b32 s23, 0x3fe8ea18
	v_fma_f64 v[12:13], v[10:11], v[12:13], 1.0
	v_fma_f64 v[0:1], v[0:1], v[4:5], -v[6:7]
	v_fma_f64 v[4:5], v[10:11], v[12:13], 1.0
	v_add_f64 v[0:1], v[0:1], s[22:23]
	v_ldexp_f64 v[4:5], v[4:5], v8
	v_add_f64 v[6:7], v[0:1], -v[6:7]
                                        ; implicit-def: $vgpr0_vgpr1
	v_cndmask_b32_e32 v5, 0x7ff00000, v5, vcc_lo
	v_cndmask_b32_e32 v4, 0, v4, vcc_lo
	s_and_saveexec_b32 s21, s0
	s_xor_b32 s0, exec_lo, s21
	s_cbranch_execz .LBB8_683
; %bb.682:
	v_cmp_gt_f64_e64 s21, 0x10000000, |v[2:3]|
	v_mul_f64 v[6:7], v[6:7], 0.5
	v_cndmask_b32_e64 v0, 0, 0x100, s21
	v_mul_f64 v[4:5], v[4:5], v[6:7]
	v_ldexp_f64 v[0:1], |v[2:3]|, v0
	v_rsq_f64_e32 v[2:3], v[0:1]
	v_cmp_class_f64_e64 vcc_lo, v[0:1], 0x260
	v_mul_f64 v[8:9], v[0:1], v[2:3]
	v_mul_f64 v[2:3], v[2:3], 0.5
	v_fma_f64 v[10:11], -v[2:3], v[8:9], 0.5
	v_fma_f64 v[8:9], v[8:9], v[10:11], v[8:9]
	v_fma_f64 v[2:3], v[2:3], v[10:11], v[2:3]
	v_fma_f64 v[10:11], -v[8:9], v[8:9], v[0:1]
	v_fma_f64 v[8:9], v[10:11], v[2:3], v[8:9]
	v_fma_f64 v[10:11], -v[8:9], v[8:9], v[0:1]
	v_fma_f64 v[2:3], v[10:11], v[2:3], v[8:9]
	v_cndmask_b32_e64 v8, 0, 0xffffff80, s21
	v_ldexp_f64 v[2:3], v[2:3], v8
	v_cndmask_b32_e32 v1, v3, v1, vcc_lo
	v_cndmask_b32_e32 v0, v2, v0, vcc_lo
	v_div_scale_f64 v[2:3], null, v[0:1], v[0:1], v[4:5]
	v_rcp_f64_e32 v[6:7], v[2:3]
	v_fma_f64 v[8:9], -v[2:3], v[6:7], 1.0
	v_fma_f64 v[6:7], v[6:7], v[8:9], v[6:7]
	v_fma_f64 v[8:9], -v[2:3], v[6:7], 1.0
	v_fma_f64 v[6:7], v[6:7], v[8:9], v[6:7]
	v_div_scale_f64 v[8:9], vcc_lo, v[4:5], v[0:1], v[4:5]
	v_mul_f64 v[10:11], v[8:9], v[6:7]
	v_fma_f64 v[2:3], -v[2:3], v[10:11], v[8:9]
	v_div_fmas_f64 v[2:3], v[2:3], v[6:7], v[10:11]
                                        ; implicit-def: $vgpr6_vgpr7
	v_div_fixup_f64 v[0:1], v[2:3], v[0:1], v[4:5]
                                        ; implicit-def: $vgpr2_vgpr3
                                        ; implicit-def: $vgpr4_vgpr5
.LBB8_683:
	s_andn2_saveexec_b32 s0, s0
	s_cbranch_execz .LBB8_685
; %bb.684:
	v_cmp_gt_f64_e64 s21, 0x10000000, |v[2:3]|
	v_mul_f64 v[6:7], v[6:7], -0.5
	v_cndmask_b32_e64 v0, 0, 0x100, s21
	v_mul_f64 v[4:5], v[4:5], v[6:7]
	v_ldexp_f64 v[0:1], |v[2:3]|, v0
	v_rsq_f64_e32 v[2:3], v[0:1]
	v_cmp_class_f64_e64 vcc_lo, v[0:1], 0x260
	v_mul_f64 v[8:9], v[0:1], v[2:3]
	v_mul_f64 v[2:3], v[2:3], 0.5
	v_fma_f64 v[10:11], -v[2:3], v[8:9], 0.5
	v_fma_f64 v[8:9], v[8:9], v[10:11], v[8:9]
	v_fma_f64 v[2:3], v[2:3], v[10:11], v[2:3]
	v_fma_f64 v[10:11], -v[8:9], v[8:9], v[0:1]
	v_fma_f64 v[8:9], v[10:11], v[2:3], v[8:9]
	v_fma_f64 v[10:11], -v[8:9], v[8:9], v[0:1]
	v_fma_f64 v[2:3], v[10:11], v[2:3], v[8:9]
	v_cndmask_b32_e64 v8, 0, 0xffffff80, s21
	v_ldexp_f64 v[2:3], v[2:3], v8
	v_cndmask_b32_e32 v1, v3, v1, vcc_lo
	v_cndmask_b32_e32 v0, v2, v0, vcc_lo
	v_div_scale_f64 v[2:3], null, v[0:1], v[0:1], v[4:5]
	v_rcp_f64_e32 v[6:7], v[2:3]
	v_fma_f64 v[8:9], -v[2:3], v[6:7], 1.0
	v_fma_f64 v[6:7], v[6:7], v[8:9], v[6:7]
	v_fma_f64 v[8:9], -v[2:3], v[6:7], 1.0
	v_fma_f64 v[6:7], v[6:7], v[8:9], v[6:7]
	v_div_scale_f64 v[8:9], vcc_lo, v[4:5], v[0:1], v[4:5]
	v_mul_f64 v[10:11], v[8:9], v[6:7]
	v_fma_f64 v[2:3], -v[2:3], v[10:11], v[8:9]
	v_div_fmas_f64 v[2:3], v[2:3], v[6:7], v[10:11]
	v_div_fixup_f64 v[0:1], v[2:3], v[0:1], v[4:5]
.LBB8_685:
	s_or_b32 exec_lo, exec_lo, s0
.LBB8_686:
	s_or_b32 exec_lo, exec_lo, s20
	v_mul_lo_u32 v2, v14, s2
	s_and_b32 s20, s1, 0xff
	s_cmp_lt_i32 s20, 11
	v_ashrrev_i32_e32 v3, 31, v2
	v_add_co_u32 v4, vcc_lo, s8, v2
	v_add_co_ci_u32_e64 v5, null, s9, v3, vcc_lo
	s_cbranch_scc1 .LBB8_694
; %bb.687:
	s_and_b32 s21, 0xffff, s20
	s_cmp_gt_i32 s21, 25
	s_cbranch_scc0 .LBB8_695
; %bb.688:
	s_cmp_gt_i32 s21, 28
	s_cbranch_scc0 .LBB8_696
; %bb.689:
	;; [unrolled: 3-line block ×4, first 2 shown]
	s_mov_b32 s23, 0
	s_mov_b32 s0, -1
	s_cmp_eq_u32 s21, 46
	s_mov_b32 s22, 0
	s_cbranch_scc0 .LBB8_699
; %bb.692:
	v_cvt_f32_f64_e32 v2, v[0:1]
	s_mov_b32 s22, -1
	s_mov_b32 s0, 0
	v_bfe_u32 v3, v2, 16, 1
	v_cmp_o_f32_e32 vcc_lo, v2, v2
	v_add3_u32 v2, v2, v3, 0x7fff
	v_mov_b32_e32 v3, 0x7fc0
	v_cndmask_b32_sdwa v2, v3, v2, vcc_lo dst_sel:DWORD dst_unused:UNUSED_PAD src0_sel:DWORD src1_sel:WORD_1
	global_store_dword v[4:5], v2, off
	s_branch .LBB8_699
.LBB8_693:
	s_mov_b32 s20, 0
	s_mov_b32 s0, s16
	s_branch .LBB8_810
.LBB8_694:
	s_mov_b32 s21, -1
	s_mov_b32 s22, 0
	s_mov_b32 s0, s16
	s_branch .LBB8_768
.LBB8_695:
	s_mov_b32 s23, -1
	s_mov_b32 s22, 0
	s_mov_b32 s0, s16
	s_branch .LBB8_726
.LBB8_696:
	s_mov_b32 s23, -1
	s_mov_b32 s22, 0
	s_mov_b32 s0, s16
	s_branch .LBB8_709
.LBB8_697:
	s_mov_b32 s23, -1
	s_mov_b32 s22, 0
	s_mov_b32 s0, s16
	s_branch .LBB8_705
.LBB8_698:
	s_mov_b32 s23, -1
	s_mov_b32 s22, 0
	s_mov_b32 s0, s16
.LBB8_699:
	s_and_b32 vcc_lo, exec_lo, s23
	s_cbranch_vccz .LBB8_704
; %bb.700:
	s_cmp_eq_u32 s21, 44
	s_mov_b32 s0, -1
	s_cbranch_scc0 .LBB8_704
; %bb.701:
	v_cvt_f32_f64_e32 v2, v[0:1]
	v_mov_b32_e32 v3, 0xff
	s_mov_b32 s22, exec_lo
	v_bfe_u32 v6, v2, 23, 8
	v_cmpx_ne_u32_e32 0xff, v6
	s_cbranch_execz .LBB8_703
; %bb.702:
	v_and_b32_e32 v3, 0x400000, v2
	v_and_or_b32 v6, 0x3fffff, v2, v6
	v_lshrrev_b32_e32 v2, 23, v2
	v_cmp_ne_u32_e32 vcc_lo, 0, v3
	v_cmp_ne_u32_e64 s0, 0, v6
	s_and_b32 s0, vcc_lo, s0
	v_cndmask_b32_e64 v3, 0, 1, s0
	v_add_nc_u32_e32 v3, v2, v3
.LBB8_703:
	s_or_b32 exec_lo, exec_lo, s22
	s_mov_b32 s22, -1
	s_mov_b32 s0, 0
	global_store_byte v[4:5], v3, off
.LBB8_704:
	s_mov_b32 s23, 0
.LBB8_705:
	s_and_b32 vcc_lo, exec_lo, s23
	s_cbranch_vccz .LBB8_708
; %bb.706:
	s_cmp_eq_u32 s21, 29
	s_mov_b32 s0, -1
	s_cbranch_scc0 .LBB8_708
; %bb.707:
	v_trunc_f64_e32 v[2:3], v[0:1]
	s_mov_b32 s22, -1
	s_mov_b32 s0, 0
	s_mov_b32 s23, 0
	v_ldexp_f64 v[6:7], v[2:3], 0xffffffe0
	v_floor_f64_e32 v[6:7], v[6:7]
	v_fma_f64 v[2:3], 0xc1f00000, v[6:7], v[2:3]
	v_cvt_u32_f64_e32 v7, v[6:7]
	v_cvt_u32_f64_e32 v6, v[2:3]
	global_store_dwordx2 v[4:5], v[6:7], off
	s_branch .LBB8_709
.LBB8_708:
	s_mov_b32 s23, 0
.LBB8_709:
	s_and_b32 vcc_lo, exec_lo, s23
	s_cbranch_vccz .LBB8_725
; %bb.710:
	s_cmp_lt_i32 s21, 27
	s_mov_b32 s22, -1
	s_cbranch_scc1 .LBB8_716
; %bb.711:
	v_cvt_u32_f64_e32 v2, v[0:1]
	s_cmp_gt_i32 s21, 27
	s_cbranch_scc0 .LBB8_713
; %bb.712:
	s_mov_b32 s22, 0
	global_store_dword v[4:5], v2, off
.LBB8_713:
	s_andn2_b32 vcc_lo, exec_lo, s22
	s_cbranch_vccnz .LBB8_715
; %bb.714:
	global_store_short v[4:5], v2, off
.LBB8_715:
	s_mov_b32 s22, 0
.LBB8_716:
	s_andn2_b32 vcc_lo, exec_lo, s22
	s_cbranch_vccnz .LBB8_724
; %bb.717:
	v_cvt_f32_f64_e32 v2, v[0:1]
	v_mov_b32_e32 v6, 0x80
	s_mov_b32 s22, exec_lo
	v_and_b32_e32 v3, 0x7fffffff, v2
	v_cmpx_gt_u32_e32 0x43800000, v3
	s_cbranch_execz .LBB8_723
; %bb.718:
	v_cmp_lt_u32_e32 vcc_lo, 0x3bffffff, v3
	s_mov_b32 s23, 0
                                        ; implicit-def: $vgpr3
	s_and_saveexec_b32 s24, vcc_lo
	s_xor_b32 s24, exec_lo, s24
	s_cbranch_execz .LBB8_825
; %bb.719:
	v_bfe_u32 v3, v2, 20, 1
	s_mov_b32 s23, exec_lo
	v_add3_u32 v3, v2, v3, 0x487ffff
	v_lshrrev_b32_e32 v3, 20, v3
	s_andn2_saveexec_b32 s24, s24
	s_cbranch_execnz .LBB8_826
.LBB8_720:
	s_or_b32 exec_lo, exec_lo, s24
	v_mov_b32_e32 v6, 0
	s_and_saveexec_b32 s24, s23
.LBB8_721:
	v_lshrrev_b32_e32 v2, 24, v2
	v_and_or_b32 v6, 0x80, v2, v3
.LBB8_722:
	s_or_b32 exec_lo, exec_lo, s24
.LBB8_723:
	s_or_b32 exec_lo, exec_lo, s22
	global_store_byte v[4:5], v6, off
.LBB8_724:
	s_mov_b32 s22, -1
.LBB8_725:
	s_mov_b32 s23, 0
.LBB8_726:
	s_and_b32 vcc_lo, exec_lo, s23
	s_cbranch_vccz .LBB8_767
; %bb.727:
	s_cmp_gt_i32 s21, 22
	s_mov_b32 s23, -1
	s_cbranch_scc0 .LBB8_759
; %bb.728:
	s_cmp_lt_i32 s21, 24
	s_mov_b32 s22, -1
	s_cbranch_scc1 .LBB8_748
; %bb.729:
	s_cmp_gt_i32 s21, 24
	s_cbranch_scc0 .LBB8_737
; %bb.730:
	v_cvt_f32_f64_e32 v2, v[0:1]
	v_mov_b32_e32 v6, 0x80
	s_mov_b32 s22, exec_lo
	v_and_b32_e32 v3, 0x7fffffff, v2
	v_cmpx_gt_u32_e32 0x47800000, v3
	s_cbranch_execz .LBB8_736
; %bb.731:
	v_cmp_lt_u32_e32 vcc_lo, 0x37ffffff, v3
	s_mov_b32 s23, 0
                                        ; implicit-def: $vgpr3
	s_and_saveexec_b32 s24, vcc_lo
	s_xor_b32 s24, exec_lo, s24
	s_cbranch_execz .LBB8_828
; %bb.732:
	v_bfe_u32 v3, v2, 21, 1
	s_mov_b32 s23, exec_lo
	v_add3_u32 v3, v2, v3, 0x88fffff
	v_lshrrev_b32_e32 v3, 21, v3
	s_andn2_saveexec_b32 s24, s24
	s_cbranch_execnz .LBB8_829
.LBB8_733:
	s_or_b32 exec_lo, exec_lo, s24
	v_mov_b32_e32 v6, 0
	s_and_saveexec_b32 s24, s23
.LBB8_734:
	v_lshrrev_b32_e32 v2, 24, v2
	v_and_or_b32 v6, 0x80, v2, v3
.LBB8_735:
	s_or_b32 exec_lo, exec_lo, s24
.LBB8_736:
	s_or_b32 exec_lo, exec_lo, s22
	s_mov_b32 s22, 0
	global_store_byte v[4:5], v6, off
.LBB8_737:
	s_and_b32 vcc_lo, exec_lo, s22
	s_cbranch_vccz .LBB8_747
; %bb.738:
	v_cvt_f32_f64_e32 v2, v[0:1]
	s_mov_b32 s22, exec_lo
                                        ; implicit-def: $vgpr3
	v_and_b32_e32 v6, 0x7fffffff, v2
	v_cmpx_gt_u32_e32 0x43f00000, v6
	s_xor_b32 s22, exec_lo, s22
	s_cbranch_execz .LBB8_744
; %bb.739:
	s_mov_b32 s23, exec_lo
                                        ; implicit-def: $vgpr3
	v_cmpx_lt_u32_e32 0x3c7fffff, v6
	s_xor_b32 s23, exec_lo, s23
; %bb.740:
	v_bfe_u32 v3, v2, 20, 1
	v_add3_u32 v3, v2, v3, 0x407ffff
	v_and_b32_e32 v6, 0xff00000, v3
	v_lshrrev_b32_e32 v3, 20, v3
	v_cmp_ne_u32_e32 vcc_lo, 0x7f00000, v6
	v_cndmask_b32_e32 v3, 0x7e, v3, vcc_lo
; %bb.741:
	s_andn2_saveexec_b32 s23, s23
; %bb.742:
	v_add_f32_e64 v3, 0x46800000, |v2|
; %bb.743:
	s_or_b32 exec_lo, exec_lo, s23
                                        ; implicit-def: $vgpr6
.LBB8_744:
	s_andn2_saveexec_b32 s22, s22
; %bb.745:
	v_mov_b32_e32 v3, 0x7f
	v_cmp_lt_u32_e32 vcc_lo, 0x7f800000, v6
	v_cndmask_b32_e32 v3, 0x7e, v3, vcc_lo
; %bb.746:
	s_or_b32 exec_lo, exec_lo, s22
	v_lshrrev_b32_e32 v2, 24, v2
	v_and_or_b32 v2, 0x80, v2, v3
	global_store_byte v[4:5], v2, off
.LBB8_747:
	s_mov_b32 s22, 0
.LBB8_748:
	s_andn2_b32 vcc_lo, exec_lo, s22
	s_cbranch_vccnz .LBB8_758
; %bb.749:
	v_cvt_f32_f64_e32 v2, v[0:1]
	s_mov_b32 s22, exec_lo
                                        ; implicit-def: $vgpr3
	v_and_b32_e32 v6, 0x7fffffff, v2
	v_cmpx_gt_u32_e32 0x47800000, v6
	s_xor_b32 s22, exec_lo, s22
	s_cbranch_execz .LBB8_755
; %bb.750:
	s_mov_b32 s23, exec_lo
                                        ; implicit-def: $vgpr3
	v_cmpx_lt_u32_e32 0x387fffff, v6
	s_xor_b32 s23, exec_lo, s23
; %bb.751:
	v_bfe_u32 v3, v2, 21, 1
	v_add3_u32 v3, v2, v3, 0x80fffff
	v_lshrrev_b32_e32 v3, 21, v3
; %bb.752:
	s_andn2_saveexec_b32 s23, s23
; %bb.753:
	v_add_f32_e64 v3, 0x43000000, |v2|
; %bb.754:
	s_or_b32 exec_lo, exec_lo, s23
                                        ; implicit-def: $vgpr6
.LBB8_755:
	s_andn2_saveexec_b32 s22, s22
; %bb.756:
	v_mov_b32_e32 v3, 0x7f
	v_cmp_lt_u32_e32 vcc_lo, 0x7f800000, v6
	v_cndmask_b32_e32 v3, 0x7c, v3, vcc_lo
; %bb.757:
	s_or_b32 exec_lo, exec_lo, s22
	v_lshrrev_b32_e32 v2, 24, v2
	v_and_or_b32 v2, 0x80, v2, v3
	global_store_byte v[4:5], v2, off
.LBB8_758:
	s_mov_b32 s23, 0
	s_mov_b32 s22, -1
.LBB8_759:
	s_andn2_b32 vcc_lo, exec_lo, s23
	s_cbranch_vccnz .LBB8_767
; %bb.760:
	s_cmp_gt_i32 s21, 14
	s_mov_b32 s23, -1
	s_cbranch_scc0 .LBB8_764
; %bb.761:
	s_cmp_eq_u32 s21, 15
	s_mov_b32 s0, -1
	s_cbranch_scc0 .LBB8_763
; %bb.762:
	v_cvt_f32_f64_e32 v2, v[0:1]
	s_mov_b32 s22, -1
	s_mov_b32 s0, 0
	v_bfe_u32 v3, v2, 16, 1
	v_cmp_o_f32_e32 vcc_lo, v2, v2
	v_add3_u32 v2, v2, v3, 0x7fff
	v_mov_b32_e32 v3, 0x7fc0
	v_cndmask_b32_sdwa v2, v3, v2, vcc_lo dst_sel:DWORD dst_unused:UNUSED_PAD src0_sel:DWORD src1_sel:WORD_1
	global_store_short v[4:5], v2, off
.LBB8_763:
	s_mov_b32 s23, 0
.LBB8_764:
	s_and_b32 vcc_lo, exec_lo, s23
	s_cbranch_vccz .LBB8_767
; %bb.765:
	s_cmp_eq_u32 s21, 11
	s_mov_b32 s0, -1
	s_cbranch_scc0 .LBB8_767
; %bb.766:
	v_cmp_neq_f64_e32 vcc_lo, 0, v[0:1]
	s_mov_b32 s22, -1
	s_mov_b32 s0, 0
	v_cndmask_b32_e64 v2, 0, 1, vcc_lo
	global_store_byte v[4:5], v2, off
.LBB8_767:
	s_mov_b32 s21, 0
.LBB8_768:
	s_and_b32 vcc_lo, exec_lo, s21
	s_cbranch_vccz .LBB8_807
; %bb.769:
	s_and_b32 s20, 0xffff, s20
	s_mov_b32 s21, -1
	s_cmp_lt_i32 s20, 5
	s_cbranch_scc1 .LBB8_790
; %bb.770:
	s_cmp_lt_i32 s20, 8
	s_cbranch_scc1 .LBB8_780
; %bb.771:
	;; [unrolled: 3-line block ×3, first 2 shown]
	s_cmp_gt_i32 s20, 9
	s_cbranch_scc0 .LBB8_774
; %bb.773:
	v_mov_b32_e32 v2, 0
	s_mov_b32 s21, 0
	v_mov_b32_e32 v3, v2
	global_store_dwordx4 v[4:5], v[0:3], off
.LBB8_774:
	s_andn2_b32 vcc_lo, exec_lo, s21
	s_cbranch_vccnz .LBB8_776
; %bb.775:
	v_cvt_f32_f64_e32 v2, v[0:1]
	v_mov_b32_e32 v3, 0
	global_store_dwordx2 v[4:5], v[2:3], off
.LBB8_776:
	s_mov_b32 s21, 0
.LBB8_777:
	s_andn2_b32 vcc_lo, exec_lo, s21
	s_cbranch_vccnz .LBB8_779
; %bb.778:
	v_and_or_b32 v2, 0x1ff, v1, v0
	v_lshrrev_b32_e32 v3, 8, v1
	v_bfe_u32 v6, v1, 20, 11
	v_cmp_ne_u32_e32 vcc_lo, 0, v2
	v_sub_nc_u32_e32 v7, 0x3f1, v6
	v_add_nc_u32_e32 v6, 0xfffffc10, v6
	v_cndmask_b32_e64 v2, 0, 1, vcc_lo
	v_and_or_b32 v2, 0xffe, v3, v2
	v_med3_i32 v3, v7, 0, 13
	v_or_b32_e32 v7, 0x1000, v2
	v_lshrrev_b32_e32 v8, v3, v7
	v_lshlrev_b32_e32 v3, v3, v8
	v_cmp_ne_u32_e32 vcc_lo, v3, v7
	v_lshl_or_b32 v7, v6, 12, v2
	v_cndmask_b32_e64 v3, 0, 1, vcc_lo
	v_cmp_gt_i32_e32 vcc_lo, 1, v6
	v_or_b32_e32 v3, v8, v3
	v_cndmask_b32_e32 v3, v7, v3, vcc_lo
	v_and_b32_e32 v7, 7, v3
	v_lshrrev_b32_e32 v3, 2, v3
	v_cmp_lt_i32_e32 vcc_lo, 5, v7
	v_cndmask_b32_e64 v8, 0, 1, vcc_lo
	v_cmp_eq_u32_e32 vcc_lo, 3, v7
	v_cndmask_b32_e64 v7, 0, 1, vcc_lo
	v_cmp_ne_u32_e32 vcc_lo, 0, v2
	v_or_b32_e32 v7, v7, v8
	v_mov_b32_e32 v8, 0x7e00
	v_add_nc_u32_e32 v3, v3, v7
	v_cndmask_b32_e32 v2, 0x7c00, v8, vcc_lo
	v_cmp_gt_i32_e32 vcc_lo, 31, v6
	v_cndmask_b32_e32 v3, 0x7c00, v3, vcc_lo
	v_cmp_eq_u32_e32 vcc_lo, 0x40f, v6
	v_cndmask_b32_e32 v2, v3, v2, vcc_lo
	v_lshrrev_b32_e32 v3, 16, v1
	v_and_or_b32 v2, 0x8000, v3, v2
	v_and_b32_e32 v2, 0xffff, v2
	global_store_dword v[4:5], v2, off
.LBB8_779:
	s_mov_b32 s21, 0
.LBB8_780:
	s_andn2_b32 vcc_lo, exec_lo, s21
	s_cbranch_vccnz .LBB8_789
; %bb.781:
	s_cmp_lt_i32 s20, 6
	s_mov_b32 s21, -1
	s_cbranch_scc1 .LBB8_787
; %bb.782:
	s_cmp_gt_i32 s20, 6
	s_cbranch_scc0 .LBB8_784
; %bb.783:
	s_mov_b32 s21, 0
	global_store_dwordx2 v[4:5], v[0:1], off
.LBB8_784:
	s_andn2_b32 vcc_lo, exec_lo, s21
	s_cbranch_vccnz .LBB8_786
; %bb.785:
	v_cvt_f32_f64_e32 v2, v[0:1]
	global_store_dword v[4:5], v2, off
.LBB8_786:
	s_mov_b32 s21, 0
.LBB8_787:
	s_andn2_b32 vcc_lo, exec_lo, s21
	s_cbranch_vccnz .LBB8_789
; %bb.788:
	v_and_or_b32 v2, 0x1ff, v1, v0
	v_lshrrev_b32_e32 v3, 8, v1
	v_bfe_u32 v6, v1, 20, 11
	v_cmp_ne_u32_e32 vcc_lo, 0, v2
	v_sub_nc_u32_e32 v7, 0x3f1, v6
	v_add_nc_u32_e32 v6, 0xfffffc10, v6
	v_cndmask_b32_e64 v2, 0, 1, vcc_lo
	v_and_or_b32 v2, 0xffe, v3, v2
	v_med3_i32 v3, v7, 0, 13
	v_or_b32_e32 v7, 0x1000, v2
	v_lshrrev_b32_e32 v8, v3, v7
	v_lshlrev_b32_e32 v3, v3, v8
	v_cmp_ne_u32_e32 vcc_lo, v3, v7
	v_lshl_or_b32 v7, v6, 12, v2
	v_cndmask_b32_e64 v3, 0, 1, vcc_lo
	v_cmp_gt_i32_e32 vcc_lo, 1, v6
	v_or_b32_e32 v3, v8, v3
	v_cndmask_b32_e32 v3, v7, v3, vcc_lo
	v_and_b32_e32 v7, 7, v3
	v_lshrrev_b32_e32 v3, 2, v3
	v_cmp_lt_i32_e32 vcc_lo, 5, v7
	v_cndmask_b32_e64 v8, 0, 1, vcc_lo
	v_cmp_eq_u32_e32 vcc_lo, 3, v7
	v_cndmask_b32_e64 v7, 0, 1, vcc_lo
	v_cmp_ne_u32_e32 vcc_lo, 0, v2
	v_or_b32_e32 v7, v7, v8
	v_mov_b32_e32 v8, 0x7e00
	v_add_nc_u32_e32 v3, v3, v7
	v_cndmask_b32_e32 v2, 0x7c00, v8, vcc_lo
	v_cmp_gt_i32_e32 vcc_lo, 31, v6
	v_cndmask_b32_e32 v3, 0x7c00, v3, vcc_lo
	v_cmp_eq_u32_e32 vcc_lo, 0x40f, v6
	v_cndmask_b32_e32 v2, v3, v2, vcc_lo
	v_lshrrev_b32_e32 v3, 16, v1
	v_and_or_b32 v2, 0x8000, v3, v2
	global_store_short v[4:5], v2, off
.LBB8_789:
	s_mov_b32 s21, 0
.LBB8_790:
	s_andn2_b32 vcc_lo, exec_lo, s21
	s_cbranch_vccnz .LBB8_806
; %bb.791:
	s_cmp_lt_i32 s20, 2
	s_mov_b32 s21, -1
	s_cbranch_scc1 .LBB8_801
; %bb.792:
	s_cmp_lt_i32 s20, 3
	s_cbranch_scc1 .LBB8_798
; %bb.793:
	s_cmp_gt_i32 s20, 3
	s_cbranch_scc0 .LBB8_795
; %bb.794:
	v_trunc_f64_e32 v[2:3], v[0:1]
	s_mov_b32 s21, 0
	v_ldexp_f64 v[6:7], v[2:3], 0xffffffe0
	v_floor_f64_e32 v[6:7], v[6:7]
	v_fma_f64 v[2:3], 0xc1f00000, v[6:7], v[2:3]
	v_cvt_i32_f64_e32 v7, v[6:7]
	v_cvt_u32_f64_e32 v6, v[2:3]
	global_store_dwordx2 v[4:5], v[6:7], off
.LBB8_795:
	s_andn2_b32 vcc_lo, exec_lo, s21
	s_cbranch_vccnz .LBB8_797
; %bb.796:
	v_cvt_i32_f64_e32 v2, v[0:1]
	global_store_dword v[4:5], v2, off
.LBB8_797:
	s_mov_b32 s21, 0
.LBB8_798:
	s_andn2_b32 vcc_lo, exec_lo, s21
	s_cbranch_vccnz .LBB8_800
; %bb.799:
	v_cvt_i32_f64_e32 v2, v[0:1]
	global_store_short v[4:5], v2, off
.LBB8_800:
	s_mov_b32 s21, 0
.LBB8_801:
	s_andn2_b32 vcc_lo, exec_lo, s21
	s_cbranch_vccnz .LBB8_806
; %bb.802:
	s_cmp_gt_i32 s20, 0
	s_mov_b32 s20, -1
	s_cbranch_scc0 .LBB8_804
; %bb.803:
	v_cvt_i32_f64_e32 v2, v[0:1]
	s_mov_b32 s20, 0
	global_store_byte v[4:5], v2, off
.LBB8_804:
	s_andn2_b32 vcc_lo, exec_lo, s20
	s_cbranch_vccnz .LBB8_806
; %bb.805:
	v_trunc_f64_e32 v[0:1], v[0:1]
	v_ldexp_f64 v[2:3], v[0:1], 0xffffffe0
	v_floor_f64_e32 v[2:3], v[2:3]
	v_fma_f64 v[0:1], 0xc1f00000, v[2:3], v[0:1]
	v_cvt_u32_f64_e32 v0, v[0:1]
	global_store_byte v[4:5], v0, off
.LBB8_806:
	s_mov_b32 s22, -1
.LBB8_807:
	s_andn2_b32 vcc_lo, exec_lo, s22
	s_cbranch_vccnz .LBB8_809
; %bb.808:
	v_add_nc_u32_e32 v14, 0x80, v14
	s_mov_b32 s20, -1
	s_branch .LBB8_811
.LBB8_809:
	s_mov_b32 s20, 0
.LBB8_810:
                                        ; implicit-def: $vgpr14
.LBB8_811:
	s_andn2_b32 s21, s16, exec_lo
	s_and_b32 s0, s0, exec_lo
	s_andn2_b32 s22, s15, exec_lo
	s_and_b32 s23, s19, exec_lo
	s_or_b32 s19, s21, s0
	s_or_b32 s0, s22, s23
	s_orn2_b32 s20, s20, exec_lo
.LBB8_812:
	s_or_b32 exec_lo, exec_lo, s18
	s_mov_b32 s21, 0
	s_mov_b32 s22, 0
	;; [unrolled: 1-line block ×3, first 2 shown]
                                        ; implicit-def: $vgpr0_vgpr1
                                        ; implicit-def: $vgpr2_vgpr3
	s_and_saveexec_b32 s18, s20
	s_cbranch_execz .LBB8_897
; %bb.813:
	v_cmp_gt_i32_e32 vcc_lo, s12, v14
	s_mov_b32 s20, 0
	s_mov_b32 s21, s0
	s_mov_b32 s24, 0
                                        ; implicit-def: $vgpr0_vgpr1
                                        ; implicit-def: $vgpr2_vgpr3
	s_and_saveexec_b32 s12, vcc_lo
	s_cbranch_execz .LBB8_896
; %bb.814:
	v_mul_lo_u32 v0, v14, s3
	s_and_b32 s20, 0xffff, s5
	s_cmp_lt_i32 s20, 11
	v_ashrrev_i32_e32 v1, 31, v0
	v_add_co_u32 v0, vcc_lo, s10, v0
	v_add_co_ci_u32_e64 v1, null, s11, v1, vcc_lo
	s_cbranch_scc1 .LBB8_821
; %bb.815:
	s_cmp_gt_i32 s20, 25
	s_cbranch_scc0 .LBB8_822
; %bb.816:
	s_cmp_gt_i32 s20, 28
	s_cbranch_scc0 .LBB8_823
	;; [unrolled: 3-line block ×4, first 2 shown]
; %bb.819:
	s_cmp_eq_u32 s20, 46
	s_cbranch_scc0 .LBB8_830
; %bb.820:
	global_load_dword v2, v[0:1], off
	s_mov_b32 s21, 0
	s_mov_b32 s23, -1
	s_waitcnt vmcnt(0)
	v_lshlrev_b32_e32 v2, 16, v2
	v_cvt_f64_f32_e32 v[2:3], v2
	s_branch .LBB8_832
.LBB8_821:
	s_mov_b32 s20, -1
	s_mov_b32 s21, s0
                                        ; implicit-def: $vgpr2_vgpr3
	s_branch .LBB8_895
.LBB8_822:
	s_mov_b32 s24, -1
	s_mov_b32 s21, s0
                                        ; implicit-def: $vgpr2_vgpr3
	s_branch .LBB8_863
.LBB8_823:
	s_mov_b32 s24, -1
	s_mov_b32 s21, s0
                                        ; implicit-def: $vgpr2_vgpr3
	s_branch .LBB8_842
.LBB8_824:
	s_mov_b32 s24, -1
	s_mov_b32 s21, s0
                                        ; implicit-def: $vgpr2_vgpr3
	s_branch .LBB8_837
.LBB8_825:
	s_andn2_saveexec_b32 s24, s24
	s_cbranch_execz .LBB8_720
.LBB8_826:
	v_add_f32_e64 v3, 0x46000000, |v2|
	s_andn2_b32 s23, s23, exec_lo
	v_and_b32_e32 v3, 0xff, v3
	v_cmp_ne_u32_e32 vcc_lo, 0, v3
	s_and_b32 s25, vcc_lo, exec_lo
	s_or_b32 s23, s23, s25
	s_or_b32 exec_lo, exec_lo, s24
	v_mov_b32_e32 v6, 0
	s_and_saveexec_b32 s24, s23
	s_cbranch_execnz .LBB8_721
	s_branch .LBB8_722
.LBB8_827:
	s_mov_b32 s24, -1
	s_mov_b32 s21, s0
	s_branch .LBB8_831
.LBB8_828:
	s_andn2_saveexec_b32 s24, s24
	s_cbranch_execz .LBB8_733
.LBB8_829:
	v_add_f32_e64 v3, 0x42800000, |v2|
	s_andn2_b32 s23, s23, exec_lo
	v_and_b32_e32 v3, 0xff, v3
	v_cmp_ne_u32_e32 vcc_lo, 0, v3
	s_and_b32 s25, vcc_lo, exec_lo
	s_or_b32 s23, s23, s25
	s_or_b32 exec_lo, exec_lo, s24
	v_mov_b32_e32 v6, 0
	s_and_saveexec_b32 s24, s23
	s_cbranch_execnz .LBB8_734
	s_branch .LBB8_735
.LBB8_830:
	s_mov_b32 s21, -1
.LBB8_831:
                                        ; implicit-def: $vgpr2_vgpr3
.LBB8_832:
	s_and_b32 vcc_lo, exec_lo, s24
	s_cbranch_vccz .LBB8_836
; %bb.833:
	s_cmp_eq_u32 s20, 44
	s_cbranch_scc0 .LBB8_835
; %bb.834:
	global_load_ubyte v4, v[0:1], off
	s_mov_b32 s21, 0
	s_mov_b32 s23, -1
	s_waitcnt vmcnt(0)
	v_lshlrev_b32_e32 v2, 23, v4
	v_cmp_ne_u32_e32 vcc_lo, 0xff, v4
	v_cvt_f64_f32_e32 v[2:3], v2
	v_cndmask_b32_e32 v2, 0x20000000, v2, vcc_lo
	v_cndmask_b32_e32 v3, 0x7ff80000, v3, vcc_lo
	v_cmp_ne_u32_e32 vcc_lo, 0, v4
	v_cndmask_b32_e32 v3, 0x38000000, v3, vcc_lo
	v_cndmask_b32_e32 v2, 0, v2, vcc_lo
	s_branch .LBB8_836
.LBB8_835:
	s_mov_b32 s21, -1
                                        ; implicit-def: $vgpr2_vgpr3
.LBB8_836:
	s_mov_b32 s24, 0
.LBB8_837:
	s_and_b32 vcc_lo, exec_lo, s24
	s_cbranch_vccz .LBB8_841
; %bb.838:
	s_cmp_eq_u32 s20, 29
	s_cbranch_scc0 .LBB8_840
; %bb.839:
	global_load_dwordx2 v[2:3], v[0:1], off
	s_mov_b32 s21, 0
	s_mov_b32 s23, -1
	s_mov_b32 s24, 0
	s_waitcnt vmcnt(0)
	v_cvt_f64_u32_e32 v[3:4], v3
	v_cvt_f64_u32_e32 v[5:6], v2
	v_ldexp_f64 v[3:4], v[3:4], 32
	v_add_f64 v[2:3], v[3:4], v[5:6]
	s_branch .LBB8_842
.LBB8_840:
	s_mov_b32 s21, -1
                                        ; implicit-def: $vgpr2_vgpr3
.LBB8_841:
	s_mov_b32 s24, 0
.LBB8_842:
	s_and_b32 vcc_lo, exec_lo, s24
	s_cbranch_vccz .LBB8_862
; %bb.843:
	s_cmp_lt_i32 s20, 27
	s_cbranch_scc1 .LBB8_846
; %bb.844:
	s_cmp_gt_i32 s20, 27
	s_cbranch_scc0 .LBB8_847
; %bb.845:
	global_load_dword v2, v[0:1], off
	s_mov_b32 s23, 0
	s_waitcnt vmcnt(0)
	v_cvt_f64_u32_e32 v[2:3], v2
	s_branch .LBB8_848
.LBB8_846:
	s_mov_b32 s23, -1
                                        ; implicit-def: $vgpr2_vgpr3
	s_branch .LBB8_851
.LBB8_847:
	s_mov_b32 s23, -1
                                        ; implicit-def: $vgpr2_vgpr3
.LBB8_848:
	s_andn2_b32 vcc_lo, exec_lo, s23
	s_cbranch_vccnz .LBB8_850
; %bb.849:
	global_load_ushort v2, v[0:1], off
	s_waitcnt vmcnt(0)
	v_cvt_f64_u32_e32 v[2:3], v2
.LBB8_850:
	s_mov_b32 s23, 0
.LBB8_851:
	s_andn2_b32 vcc_lo, exec_lo, s23
	s_cbranch_vccnz .LBB8_861
; %bb.852:
	global_load_ubyte v4, v[0:1], off
	s_mov_b32 s23, 0
	s_mov_b32 s24, exec_lo
	s_waitcnt vmcnt(0)
	v_cmpx_lt_i16_e32 0x7f, v4
	s_xor_b32 s24, exec_lo, s24
	s_cbranch_execz .LBB8_856
; %bb.853:
	s_mov_b32 s23, -1
	s_mov_b32 s25, exec_lo
	v_cmpx_eq_u16_e32 0x80, v4
; %bb.854:
	s_xor_b32 s23, exec_lo, -1
; %bb.855:
	s_or_b32 exec_lo, exec_lo, s25
	s_and_b32 s23, s23, exec_lo
.LBB8_856:
	s_or_saveexec_b32 s24, s24
	v_bfrev_b32_e32 v2, 4
	v_mov_b32_e32 v3, 0x7ff80000
	s_xor_b32 exec_lo, exec_lo, s24
; %bb.857:
	v_cmp_ne_u16_e32 vcc_lo, 0, v4
	v_mov_b32_e32 v2, 0
	v_mov_b32_e32 v3, 0
	s_andn2_b32 s23, s23, exec_lo
	s_and_b32 s25, vcc_lo, exec_lo
	s_or_b32 s23, s23, s25
; %bb.858:
	s_or_b32 exec_lo, exec_lo, s24
	s_and_saveexec_b32 s24, s23
	s_cbranch_execz .LBB8_860
; %bb.859:
	v_and_b32_e32 v2, 0xffff, v4
	v_lshlrev_b32_e32 v4, 24, v4
	v_and_b32_e32 v3, 7, v2
	v_bfe_u32 v7, v2, 3, 4
	v_ffbh_u32_e32 v5, v3
	v_cmp_eq_u32_e32 vcc_lo, 0, v7
	v_min_u32_e32 v5, 32, v5
	v_subrev_nc_u32_e32 v6, 28, v5
	v_sub_nc_u32_e32 v5, 29, v5
	v_lshlrev_b32_e32 v2, v6, v2
	v_cndmask_b32_e32 v5, v7, v5, vcc_lo
	v_and_b32_e32 v2, 7, v2
	v_cndmask_b32_e32 v2, v3, v2, vcc_lo
	v_and_b32_e32 v3, 0x80000000, v4
	v_lshl_add_u32 v4, v5, 23, 0x3b800000
	v_lshlrev_b32_e32 v2, 20, v2
	v_or3_b32 v2, v3, v4, v2
	v_cvt_f64_f32_e32 v[2:3], v2
.LBB8_860:
	s_or_b32 exec_lo, exec_lo, s24
.LBB8_861:
	s_mov_b32 s23, -1
.LBB8_862:
	s_mov_b32 s24, 0
.LBB8_863:
	s_and_b32 vcc_lo, exec_lo, s24
	s_cbranch_vccz .LBB8_894
; %bb.864:
	s_cmp_gt_i32 s20, 22
	s_cbranch_scc0 .LBB8_876
; %bb.865:
	s_cmp_lt_i32 s20, 24
	s_cbranch_scc1 .LBB8_877
; %bb.866:
	s_cmp_gt_i32 s20, 24
	s_cbranch_scc0 .LBB8_878
; %bb.867:
	global_load_ubyte v4, v[0:1], off
	s_mov_b32 s23, exec_lo
	s_waitcnt vmcnt(0)
	v_cmpx_lt_i16_e32 0x7f, v4
	s_xor_b32 s23, exec_lo, s23
	s_cbranch_execz .LBB8_871
; %bb.868:
	s_mov_b32 s22, -1
	s_mov_b32 s24, exec_lo
	v_cmpx_eq_u16_e32 0x80, v4
; %bb.869:
	s_xor_b32 s22, exec_lo, -1
; %bb.870:
	s_or_b32 exec_lo, exec_lo, s24
	s_and_b32 s22, s22, exec_lo
.LBB8_871:
	s_or_saveexec_b32 s23, s23
	v_bfrev_b32_e32 v2, 4
	v_mov_b32_e32 v3, 0x7ff80000
	s_xor_b32 exec_lo, exec_lo, s23
; %bb.872:
	v_cmp_ne_u16_e32 vcc_lo, 0, v4
	v_mov_b32_e32 v2, 0
	v_mov_b32_e32 v3, 0
	s_andn2_b32 s22, s22, exec_lo
	s_and_b32 s24, vcc_lo, exec_lo
	s_or_b32 s22, s22, s24
; %bb.873:
	s_or_b32 exec_lo, exec_lo, s23
	s_and_saveexec_b32 s23, s22
	s_cbranch_execz .LBB8_875
; %bb.874:
	v_and_b32_e32 v2, 0xffff, v4
	v_lshlrev_b32_e32 v4, 24, v4
	v_and_b32_e32 v3, 3, v2
	v_bfe_u32 v7, v2, 2, 5
	v_ffbh_u32_e32 v5, v3
	v_cmp_eq_u32_e32 vcc_lo, 0, v7
	v_min_u32_e32 v5, 32, v5
	v_subrev_nc_u32_e32 v6, 29, v5
	v_sub_nc_u32_e32 v5, 30, v5
	v_lshlrev_b32_e32 v2, v6, v2
	v_cndmask_b32_e32 v5, v7, v5, vcc_lo
	v_and_b32_e32 v2, 3, v2
	v_cndmask_b32_e32 v2, v3, v2, vcc_lo
	v_and_b32_e32 v3, 0x80000000, v4
	v_lshl_add_u32 v4, v5, 23, 0x37800000
	v_lshlrev_b32_e32 v2, 21, v2
	v_or3_b32 v2, v3, v4, v2
	v_cvt_f64_f32_e32 v[2:3], v2
.LBB8_875:
	s_or_b32 exec_lo, exec_lo, s23
	s_mov_b32 s22, 0
	s_branch .LBB8_879
.LBB8_876:
	s_mov_b32 s22, -1
                                        ; implicit-def: $vgpr2_vgpr3
	s_branch .LBB8_885
.LBB8_877:
	s_mov_b32 s22, -1
                                        ; implicit-def: $vgpr2_vgpr3
	s_branch .LBB8_882
.LBB8_878:
	s_mov_b32 s22, -1
                                        ; implicit-def: $vgpr2_vgpr3
.LBB8_879:
	s_and_b32 vcc_lo, exec_lo, s22
	s_cbranch_vccz .LBB8_881
; %bb.880:
	global_load_ubyte v2, v[0:1], off
	s_waitcnt vmcnt(0)
	v_lshlrev_b32_e32 v2, 24, v2
	v_and_b32_e32 v3, 0x7f000000, v2
	v_ffbh_u32_e32 v4, v3
	v_add_nc_u32_e32 v6, 0x1000000, v3
	v_cmp_ne_u32_e32 vcc_lo, 0, v3
	v_min_u32_e32 v4, 32, v4
	v_sub_nc_u32_e64 v4, v4, 4 clamp
	v_lshlrev_b32_e32 v5, v4, v3
	v_lshlrev_b32_e32 v4, 23, v4
	v_lshrrev_b32_e32 v5, 4, v5
	v_sub_nc_u32_e32 v4, v5, v4
	v_ashrrev_i32_e32 v5, 8, v6
	v_add_nc_u32_e32 v4, 0x3c000000, v4
	v_and_or_b32 v4, 0x7f800000, v5, v4
	v_cndmask_b32_e32 v3, 0, v4, vcc_lo
	v_and_or_b32 v2, 0x80000000, v2, v3
	v_cvt_f64_f32_e32 v[2:3], v2
.LBB8_881:
	s_mov_b32 s22, 0
.LBB8_882:
	s_andn2_b32 vcc_lo, exec_lo, s22
	s_cbranch_vccnz .LBB8_884
; %bb.883:
	global_load_ubyte v2, v[0:1], off
	s_waitcnt vmcnt(0)
	v_lshlrev_b32_e32 v3, 25, v2
	v_lshlrev_b16 v2, 8, v2
	v_lshrrev_b32_e32 v4, 4, v3
	v_and_or_b32 v5, 0x7f00, v2, 0.5
	v_cmp_gt_u32_e32 vcc_lo, 0x8000000, v3
	v_bfe_i32 v2, v2, 0, 16
	v_or_b32_e32 v4, 0x70000000, v4
	v_add_f32_e32 v5, -0.5, v5
	v_mul_f32_e32 v4, 0x7800000, v4
	v_cndmask_b32_e32 v3, v4, v5, vcc_lo
	v_and_or_b32 v2, 0x80000000, v2, v3
	v_cvt_f64_f32_e32 v[2:3], v2
.LBB8_884:
	s_mov_b32 s22, 0
	s_mov_b32 s23, -1
.LBB8_885:
	s_andn2_b32 vcc_lo, exec_lo, s22
	s_mov_b32 s22, 0
	s_cbranch_vccnz .LBB8_894
; %bb.886:
	s_cmp_gt_i32 s20, 14
	s_cbranch_scc0 .LBB8_889
; %bb.887:
	s_cmp_eq_u32 s20, 15
	s_cbranch_scc0 .LBB8_890
; %bb.888:
	global_load_ushort v2, v[0:1], off
	s_mov_b32 s21, 0
	s_mov_b32 s23, -1
	s_waitcnt vmcnt(0)
	v_lshlrev_b32_e32 v2, 16, v2
	v_cvt_f64_f32_e32 v[2:3], v2
	s_branch .LBB8_892
.LBB8_889:
	s_mov_b32 s22, -1
	s_branch .LBB8_891
.LBB8_890:
	s_mov_b32 s21, -1
.LBB8_891:
                                        ; implicit-def: $vgpr2_vgpr3
.LBB8_892:
	s_and_b32 vcc_lo, exec_lo, s22
	s_mov_b32 s22, 0
	s_cbranch_vccz .LBB8_894
; %bb.893:
	s_cmp_lg_u32 s20, 11
	s_mov_b32 s22, -1
	s_cselect_b32 s20, -1, 0
	s_andn2_b32 s21, s21, exec_lo
	s_and_b32 s20, s20, exec_lo
	s_or_b32 s21, s21, s20
.LBB8_894:
	s_mov_b32 s20, 0
.LBB8_895:
	s_andn2_b32 s25, s0, exec_lo
	s_and_b32 s21, s21, exec_lo
	s_and_b32 s23, s23, exec_lo
	s_and_b32 s24, s20, exec_lo
	s_and_b32 s20, s22, exec_lo
	s_or_b32 s21, s25, s21
.LBB8_896:
	s_or_b32 exec_lo, exec_lo, s12
	s_andn2_b32 s0, s0, exec_lo
	s_and_b32 s12, s21, exec_lo
	s_and_b32 s23, s23, exec_lo
	;; [unrolled: 1-line block ×4, first 2 shown]
	s_or_b32 s0, s0, s12
.LBB8_897:
	s_or_b32 exec_lo, exec_lo, s18
	s_andn2_b32 s12, s16, exec_lo
	s_and_b32 s16, s19, exec_lo
	s_and_b32 s0, s0, exec_lo
	s_or_b32 s16, s12, s16
	s_andn2_b32 s12, s15, exec_lo
	s_and_b32 s20, s23, exec_lo
	s_and_b32 s19, s22, exec_lo
	;; [unrolled: 1-line block ×3, first 2 shown]
	s_or_b32 s15, s12, s0
.LBB8_898:
	s_or_b32 exec_lo, exec_lo, s17
	s_andn2_b32 s0, s7, exec_lo
	s_and_b32 s7, s16, exec_lo
	s_andn2_b32 s12, s13, exec_lo
	s_and_b32 s13, s15, exec_lo
	s_or_b32 s7, s0, s7
	s_and_b32 s0, s20, exec_lo
	s_and_b32 s16, s19, exec_lo
	;; [unrolled: 1-line block ×3, first 2 shown]
	s_or_b32 s13, s12, s13
	s_or_b32 exec_lo, exec_lo, s14
	s_mov_b32 s12, 0
	s_and_saveexec_b32 s14, s13
	s_cbranch_execz .LBB8_274
.LBB8_899:
	s_mov_b32 s12, exec_lo
	s_andn2_b32 s15, s15, exec_lo
	s_trap 2
	s_or_b32 exec_lo, exec_lo, s14
	s_and_saveexec_b32 s13, s15
	s_xor_b32 s13, exec_lo, s13
	s_cbranch_execnz .LBB8_275
.LBB8_900:
	s_or_b32 exec_lo, exec_lo, s13
	s_and_saveexec_b32 s13, s16
	s_cbranch_execz .LBB8_946
.LBB8_901:
	s_sext_i32_i16 s14, s5
	s_cmp_lt_i32 s14, 5
	s_cbranch_scc1 .LBB8_906
; %bb.902:
	s_cmp_lt_i32 s14, 8
	s_cbranch_scc1 .LBB8_907
; %bb.903:
	;; [unrolled: 3-line block ×3, first 2 shown]
	s_cmp_gt_i32 s14, 9
	s_cbranch_scc0 .LBB8_909
; %bb.905:
	global_load_dwordx2 v[2:3], v[0:1], off
	s_mov_b32 s14, 0
	s_branch .LBB8_910
.LBB8_906:
                                        ; implicit-def: $vgpr2_vgpr3
	s_branch .LBB8_927
.LBB8_907:
                                        ; implicit-def: $vgpr2_vgpr3
	s_branch .LBB8_916
.LBB8_908:
	s_mov_b32 s14, -1
                                        ; implicit-def: $vgpr2_vgpr3
	s_branch .LBB8_913
.LBB8_909:
	s_mov_b32 s14, -1
                                        ; implicit-def: $vgpr2_vgpr3
.LBB8_910:
	s_andn2_b32 vcc_lo, exec_lo, s14
	s_cbranch_vccnz .LBB8_912
; %bb.911:
	global_load_dword v2, v[0:1], off
	s_waitcnt vmcnt(0)
	v_cvt_f64_f32_e32 v[2:3], v2
.LBB8_912:
	s_mov_b32 s14, 0
.LBB8_913:
	s_andn2_b32 vcc_lo, exec_lo, s14
	s_cbranch_vccnz .LBB8_915
; %bb.914:
	global_load_dword v2, v[0:1], off
	s_waitcnt vmcnt(0)
	v_cvt_f32_f16_e32 v2, v2
	v_cvt_f64_f32_e32 v[2:3], v2
.LBB8_915:
	s_cbranch_execnz .LBB8_926
.LBB8_916:
	s_sext_i32_i16 s14, s5
	s_cmp_lt_i32 s14, 6
	s_cbranch_scc1 .LBB8_919
; %bb.917:
	s_cmp_gt_i32 s14, 6
	s_cbranch_scc0 .LBB8_920
; %bb.918:
	global_load_dwordx2 v[2:3], v[0:1], off
	s_mov_b32 s14, 0
	s_branch .LBB8_921
.LBB8_919:
	s_mov_b32 s14, -1
                                        ; implicit-def: $vgpr2_vgpr3
	s_branch .LBB8_924
.LBB8_920:
	s_mov_b32 s14, -1
                                        ; implicit-def: $vgpr2_vgpr3
.LBB8_921:
	s_andn2_b32 vcc_lo, exec_lo, s14
	s_cbranch_vccnz .LBB8_923
; %bb.922:
	global_load_dword v2, v[0:1], off
	s_waitcnt vmcnt(0)
	v_cvt_f64_f32_e32 v[2:3], v2
.LBB8_923:
	s_mov_b32 s14, 0
.LBB8_924:
	s_andn2_b32 vcc_lo, exec_lo, s14
	s_cbranch_vccnz .LBB8_926
; %bb.925:
	global_load_ushort v2, v[0:1], off
	s_waitcnt vmcnt(0)
	v_cvt_f32_f16_e32 v2, v2
	v_cvt_f64_f32_e32 v[2:3], v2
.LBB8_926:
	s_cbranch_execnz .LBB8_945
.LBB8_927:
	s_sext_i32_i16 s14, s5
	s_cmp_lt_i32 s14, 2
	s_cbranch_scc1 .LBB8_931
; %bb.928:
	s_cmp_lt_i32 s14, 3
	s_cbranch_scc1 .LBB8_932
; %bb.929:
	s_cmp_gt_i32 s14, 3
	s_cbranch_scc0 .LBB8_933
; %bb.930:
	global_load_dwordx2 v[2:3], v[0:1], off
	s_mov_b32 s14, 0
	s_waitcnt vmcnt(0)
	v_cvt_f64_i32_e32 v[3:4], v3
	v_cvt_f64_u32_e32 v[5:6], v2
	v_ldexp_f64 v[3:4], v[3:4], 32
	v_add_f64 v[2:3], v[3:4], v[5:6]
	s_branch .LBB8_934
.LBB8_931:
                                        ; implicit-def: $vgpr2_vgpr3
	s_branch .LBB8_940
.LBB8_932:
	s_mov_b32 s14, -1
                                        ; implicit-def: $vgpr2_vgpr3
	s_branch .LBB8_937
.LBB8_933:
	s_mov_b32 s14, -1
                                        ; implicit-def: $vgpr2_vgpr3
.LBB8_934:
	s_andn2_b32 vcc_lo, exec_lo, s14
	s_cbranch_vccnz .LBB8_936
; %bb.935:
	global_load_dword v2, v[0:1], off
	s_waitcnt vmcnt(0)
	v_cvt_f64_i32_e32 v[2:3], v2
.LBB8_936:
	s_mov_b32 s14, 0
.LBB8_937:
	s_andn2_b32 vcc_lo, exec_lo, s14
	s_cbranch_vccnz .LBB8_939
; %bb.938:
	global_load_sshort v2, v[0:1], off
	s_waitcnt vmcnt(0)
	v_cvt_f64_i32_e32 v[2:3], v2
.LBB8_939:
	s_cbranch_execnz .LBB8_945
.LBB8_940:
	s_sext_i32_i16 s14, s5
	s_cmp_gt_i32 s14, 0
	s_mov_b32 s14, 0
	s_cbranch_scc0 .LBB8_942
; %bb.941:
	global_load_sbyte v2, v[0:1], off
	s_waitcnt vmcnt(0)
	v_cvt_f64_i32_e32 v[2:3], v2
	s_branch .LBB8_943
.LBB8_942:
	s_mov_b32 s14, -1
                                        ; implicit-def: $vgpr2_vgpr3
.LBB8_943:
	s_andn2_b32 vcc_lo, exec_lo, s14
	s_cbranch_vccnz .LBB8_945
; %bb.944:
	global_load_ubyte v0, v[0:1], off
	s_waitcnt vmcnt(0)
	v_cvt_f64_u32_e32 v[2:3], v0
.LBB8_945:
	s_or_b32 s0, s0, exec_lo
.LBB8_946:
	s_or_b32 exec_lo, exec_lo, s13
	s_mov_b32 s16, 0
	s_mov_b32 s15, 0
                                        ; implicit-def: $sgpr14
                                        ; implicit-def: $vgpr4_vgpr5
                                        ; implicit-def: $vgpr0_vgpr1
	s_and_saveexec_b32 s13, s0
	s_cbranch_execz .LBB8_966
; %bb.947:
	s_waitcnt vmcnt(0)
	v_cmp_ge_f64_e64 s0, 0x40200000, |v[2:3]|
                                        ; implicit-def: $vgpr0_vgpr1
	s_and_saveexec_b32 s14, s0
	s_xor_b32 s0, exec_lo, s14
	s_cbranch_execz .LBB8_953
; %bb.948:
	v_fma_f64 v[0:1], |v[2:3]|, 0.5, -2.0
	s_mov_b32 s14, 0xc38a0576
	s_mov_b32 s15, 0xbc7857d0
	;; [unrolled: 1-line block ×4, first 2 shown]
	v_fma_f64 v[4:5], v[0:1], s[16:17], s[14:15]
	s_mov_b32 s17, 0xbc499f2a
	s_mov_b32 s14, 0xe593bfac
	;; [unrolled: 1-line block ×3, first 2 shown]
	v_fma_f64 v[6:7], v[0:1], v[4:5], s[16:17]
	s_mov_b32 s16, 0x3b39803f
	s_mov_b32 s17, 0xbc7abc9e
	v_add_f64 v[6:7], v[6:7], s[14:15]
	s_mov_b32 s14, 0x7e0d1573
	s_mov_b32 s15, 0xbcd3eaaa
	v_fma_f64 v[4:5], v[0:1], v[6:7], -v[4:5]
	v_add_f64 v[4:5], v[4:5], s[14:15]
	s_mov_b32 s14, 0x615290c
	s_mov_b32 s15, 0x3d011d7f
	v_fma_f64 v[6:7], v[0:1], v[4:5], -v[6:7]
	;; [unrolled: 4-line block ×20, first 2 shown]
	v_add_f64 v[6:7], v[6:7], s[14:15]
	s_mov_b32 s14, 0x652b82fe
	s_mov_b32 s15, 0x3ff71547
	v_mul_f64 v[8:9], |v[2:3]|, s[14:15]
	s_mov_b32 s14, 0x7913a26a
	s_mov_b32 s15, 0xbf85a29f
	v_fma_f64 v[4:5], v[0:1], v[6:7], -v[4:5]
	v_rndne_f64_e32 v[8:9], v[8:9]
	v_add_f64 v[4:5], v[4:5], s[14:15]
	s_mov_b32 s14, 0xfefa39ef
	s_mov_b32 s15, 0xbfe62e42
	v_fma_f64 v[10:11], v[8:9], s[14:15], |v[2:3]|
	s_mov_b32 s14, 0xe7bb2349
	s_mov_b32 s15, 0x3f9951e3
	v_fma_f64 v[6:7], v[0:1], v[4:5], -v[6:7]
	v_fma_f64 v[10:11], v[8:9], s[16:17], v[10:11]
	s_mov_b32 s16, 0x6a5dcb37
	s_mov_b32 s17, 0x3e5ade15
	v_cvt_i32_f64_e32 v8, v[8:9]
	v_add_f64 v[6:7], v[6:7], s[14:15]
	s_mov_b32 s14, 0xfca7ab0c
	s_mov_b32 s15, 0x3e928af3
	v_fma_f64 v[12:13], v[10:11], s[16:17], s[14:15]
	s_mov_b32 s14, 0x537c9ebc
	s_mov_b32 s16, 0x623fde64
	;; [unrolled: 1-line block ×4, first 2 shown]
	v_fma_f64 v[4:5], v[0:1], v[6:7], -v[4:5]
	v_fma_f64 v[12:13], v[10:11], v[12:13], s[16:17]
	s_mov_b32 s16, 0x14761f6e
	s_mov_b32 s17, 0x3f2a01a0
	v_add_f64 v[4:5], v[4:5], s[14:15]
	s_mov_b32 s14, 0x7c89e6b0
	s_mov_b32 s15, 0x3efa0199
	v_fma_f64 v[12:13], v[10:11], v[12:13], s[14:15]
	s_mov_b32 s14, 0xd536f53c
	s_mov_b32 s15, 0x3fba46da
	v_fma_f64 v[6:7], v[0:1], v[4:5], -v[6:7]
	v_fma_f64 v[12:13], v[10:11], v[12:13], s[16:17]
	s_mov_b32 s16, 0x11122322
	s_mov_b32 s17, 0x3f811111
	v_add_f64 v[6:7], v[6:7], s[14:15]
	s_mov_b32 s14, 0x1852b7b0
	s_mov_b32 s15, 0x3f56c16c
	v_fma_f64 v[12:13], v[10:11], v[12:13], s[14:15]
	s_mov_b32 s14, 0x469192e
	s_mov_b32 s15, 0xbfc694d1
	;; [unrolled: 10-line block ×3, first 2 shown]
	v_fma_f64 v[0:1], v[0:1], v[4:5], -v[6:7]
	v_fma_f64 v[4:5], v[10:11], v[12:13], s[16:17]
	v_add_f64 v[0:1], v[0:1], s[14:15]
	s_mov_b32 s14, 11
	s_mov_b32 s15, 0x3fe00000
	v_fma_f64 v[4:5], v[10:11], v[4:5], s[14:15]
	s_mov_b32 s14, exec_lo
	v_add_f64 v[0:1], v[0:1], -v[6:7]
	v_fma_f64 v[4:5], v[10:11], v[4:5], 1.0
	v_mul_f64 v[0:1], v[0:1], 0.5
	v_fma_f64 v[6:7], v[10:11], v[4:5], 1.0
	v_mul_f64 v[4:5], |v[2:3]|, v[0:1]
                                        ; implicit-def: $vgpr0_vgpr1
	v_cmpx_ngt_f64_e32 0, v[2:3]
	s_xor_b32 s14, exec_lo, s14
	s_cbranch_execz .LBB8_950
; %bb.949:
	v_ldexp_f64 v[0:1], v[6:7], v8
	v_cmp_nlt_f64_e64 vcc_lo, 0x40900000, |v[2:3]|
                                        ; implicit-def: $vgpr6_vgpr7
                                        ; implicit-def: $vgpr8
                                        ; implicit-def: $vgpr2_vgpr3
	v_cndmask_b32_e32 v1, 0x7ff00000, v1, vcc_lo
	v_cndmask_b32_e32 v0, 0, v0, vcc_lo
	v_mul_f64 v[0:1], v[0:1], v[4:5]
                                        ; implicit-def: $vgpr4_vgpr5
.LBB8_950:
	s_andn2_saveexec_b32 s14, s14
	s_cbranch_execz .LBB8_952
; %bb.951:
	v_ldexp_f64 v[0:1], -v[6:7], v8
	v_cmp_nlt_f64_e64 vcc_lo, 0x40900000, |v[2:3]|
	v_cndmask_b32_e32 v1, 0xfff00000, v1, vcc_lo
	v_cndmask_b32_e32 v0, 0, v0, vcc_lo
	v_mul_f64 v[0:1], v[0:1], v[4:5]
.LBB8_952:
	s_or_b32 exec_lo, exec_lo, s14
                                        ; implicit-def: $vgpr2_vgpr3
.LBB8_953:
	s_andn2_saveexec_b32 s14, s0
	s_cbranch_execz .LBB8_959
; %bb.954:
	v_and_b32_e32 v1, 0x7fffffff, v3
	v_mov_b32_e32 v0, v2
	s_mov_b32 s16, 0xea87b950
	s_mov_b32 s17, 0x3c545b8a
	;; [unrolled: 1-line block ×4, first 2 shown]
	v_div_scale_f64 v[4:5], null, v[0:1], v[0:1], 0x40400000
	v_div_scale_f64 v[0:1], vcc_lo, 0x40400000, v[0:1], 0x40400000
	v_cmp_ngt_f64_e64 s0, 0, v[2:3]
	v_rcp_f64_e32 v[6:7], v[4:5]
	v_fma_f64 v[8:9], -v[4:5], v[6:7], 1.0
	v_fma_f64 v[6:7], v[6:7], v[8:9], v[6:7]
	v_fma_f64 v[8:9], -v[4:5], v[6:7], 1.0
	v_fma_f64 v[6:7], v[6:7], v[8:9], v[6:7]
	v_mul_f64 v[8:9], v[0:1], v[6:7]
	v_fma_f64 v[0:1], -v[4:5], v[8:9], v[0:1]
	v_div_fmas_f64 v[0:1], v[0:1], v[6:7], v[8:9]
	v_cmp_nlt_f64_e64 vcc_lo, 0x40900000, |v[2:3]|
	v_div_fixup_f64 v[0:1], v[0:1], |v[2:3]|, 0x40400000
	v_add_f64 v[0:1], v[0:1], -2.0
	v_fma_f64 v[4:5], v[0:1], s[18:19], s[16:17]
	s_mov_b32 s19, 0xbc61556d
	s_mov_b32 s16, 0xb2532277
	;; [unrolled: 1-line block ×3, first 2 shown]
	v_fma_f64 v[6:7], v[0:1], v[4:5], s[18:19]
	s_mov_b32 s18, 0x6a5dcb37
	s_mov_b32 s19, 0x3e5ade15
	v_add_f64 v[6:7], v[6:7], s[16:17]
	s_mov_b32 s16, 0x9c773320
	s_mov_b32 s17, 0xbc82806c
	v_fma_f64 v[4:5], v[0:1], v[6:7], -v[4:5]
	v_add_f64 v[4:5], v[4:5], s[16:17]
	s_mov_b32 s16, 0xfceb588a
	s_mov_b32 s17, 0x3cb55915
	v_fma_f64 v[6:7], v[0:1], v[4:5], -v[6:7]
	;; [unrolled: 4-line block ×14, first 2 shown]
	v_add_f64 v[6:7], v[6:7], s[16:17]
	s_mov_b32 s16, 0x652b82fe
	s_mov_b32 s17, 0x3ff71547
	v_mul_f64 v[8:9], |v[2:3]|, s[16:17]
	s_mov_b32 s16, 0x5423dd80
	s_mov_b32 s17, 0xbe0334ca
	v_fma_f64 v[4:5], v[0:1], v[6:7], -v[4:5]
	v_rndne_f64_e32 v[8:9], v[8:9]
	v_add_f64 v[4:5], v[4:5], s[16:17]
	s_mov_b32 s16, 0xfefa39ef
	s_mov_b32 s17, 0xbfe62e42
	v_fma_f64 v[10:11], v[8:9], s[16:17], |v[2:3]|
	s_mov_b32 s16, 0x9ad53528
	s_mov_b32 s17, 0xbe30790b
	v_fma_f64 v[6:7], v[0:1], v[4:5], -v[6:7]
	v_add_f64 v[6:7], v[6:7], s[16:17]
	s_mov_b32 s16, 0x3b39803f
	s_mov_b32 s17, 0xbc7abc9e
	v_fma_f64 v[10:11], v[8:9], s[16:17], v[10:11]
	s_mov_b32 s16, 0xfca7ab0c
	s_mov_b32 s17, 0x3e928af3
	v_cvt_i32_f64_e32 v8, v[8:9]
	v_fma_f64 v[4:5], v[0:1], v[6:7], -v[4:5]
	v_fma_f64 v[12:13], v[10:11], s[18:19], s[16:17]
	s_mov_b32 s16, 0x94bb46c1
	s_mov_b32 s17, 0xbe5c4153
	v_add_f64 v[4:5], v[4:5], s[16:17]
	s_mov_b32 s16, 0x623fde64
	s_mov_b32 s17, 0x3ec71dee
	v_fma_f64 v[12:13], v[10:11], v[12:13], s[16:17]
	s_mov_b32 s16, 0x7c89e6b0
	s_mov_b32 s17, 0x3efa0199
	v_fma_f64 v[6:7], v[0:1], v[4:5], -v[6:7]
	v_fma_f64 v[12:13], v[10:11], v[12:13], s[16:17]
	s_mov_b32 s16, 0x2e9e5443
	s_mov_b32 s17, 0xbe90dbfd
	v_add_f64 v[6:7], v[6:7], s[16:17]
	s_mov_b32 s16, 0x14761f6e
	s_mov_b32 s17, 0x3f2a01a0
	v_fma_f64 v[12:13], v[10:11], v[12:13], s[16:17]
	s_mov_b32 s16, 0x1852b7b0
	s_mov_b32 s17, 0x3f56c16c
	;; [unrolled: 10-line block ×4, first 2 shown]
	v_fma_f64 v[4:5], v[0:1], v[6:7], -v[4:5]
	v_fma_f64 v[12:13], v[10:11], v[12:13], s[16:17]
	s_mov_b32 s16, 0x53fcdb4c
	s_mov_b32 s17, 0xbf83fda0
	v_add_f64 v[4:5], v[4:5], s[16:17]
	s_mov_b32 s16, 0xb55b1514
	s_mov_b32 s17, 0x3fe8ea18
	v_fma_f64 v[12:13], v[10:11], v[12:13], 1.0
	v_fma_f64 v[0:1], v[0:1], v[4:5], -v[6:7]
	v_fma_f64 v[4:5], v[10:11], v[12:13], 1.0
	v_add_f64 v[0:1], v[0:1], s[16:17]
	v_ldexp_f64 v[4:5], v[4:5], v8
	v_add_f64 v[6:7], v[0:1], -v[6:7]
                                        ; implicit-def: $vgpr0_vgpr1
	v_cndmask_b32_e32 v5, 0x7ff00000, v5, vcc_lo
	v_cndmask_b32_e32 v4, 0, v4, vcc_lo
	s_and_saveexec_b32 s15, s0
	s_xor_b32 s0, exec_lo, s15
	s_cbranch_execz .LBB8_956
; %bb.955:
	v_cmp_gt_f64_e64 s15, 0x10000000, |v[2:3]|
	v_mul_f64 v[6:7], v[6:7], 0.5
	v_cndmask_b32_e64 v0, 0, 0x100, s15
	v_mul_f64 v[4:5], v[4:5], v[6:7]
	v_ldexp_f64 v[0:1], |v[2:3]|, v0
	v_rsq_f64_e32 v[2:3], v[0:1]
	v_cmp_class_f64_e64 vcc_lo, v[0:1], 0x260
	v_mul_f64 v[8:9], v[0:1], v[2:3]
	v_mul_f64 v[2:3], v[2:3], 0.5
	v_fma_f64 v[10:11], -v[2:3], v[8:9], 0.5
	v_fma_f64 v[8:9], v[8:9], v[10:11], v[8:9]
	v_fma_f64 v[2:3], v[2:3], v[10:11], v[2:3]
	v_fma_f64 v[10:11], -v[8:9], v[8:9], v[0:1]
	v_fma_f64 v[8:9], v[10:11], v[2:3], v[8:9]
	v_fma_f64 v[10:11], -v[8:9], v[8:9], v[0:1]
	v_fma_f64 v[2:3], v[10:11], v[2:3], v[8:9]
	v_cndmask_b32_e64 v8, 0, 0xffffff80, s15
	v_ldexp_f64 v[2:3], v[2:3], v8
	v_cndmask_b32_e32 v1, v3, v1, vcc_lo
	v_cndmask_b32_e32 v0, v2, v0, vcc_lo
	v_div_scale_f64 v[2:3], null, v[0:1], v[0:1], v[4:5]
	v_rcp_f64_e32 v[6:7], v[2:3]
	v_fma_f64 v[8:9], -v[2:3], v[6:7], 1.0
	v_fma_f64 v[6:7], v[6:7], v[8:9], v[6:7]
	v_fma_f64 v[8:9], -v[2:3], v[6:7], 1.0
	v_fma_f64 v[6:7], v[6:7], v[8:9], v[6:7]
	v_div_scale_f64 v[8:9], vcc_lo, v[4:5], v[0:1], v[4:5]
	v_mul_f64 v[10:11], v[8:9], v[6:7]
	v_fma_f64 v[2:3], -v[2:3], v[10:11], v[8:9]
	v_div_fmas_f64 v[2:3], v[2:3], v[6:7], v[10:11]
                                        ; implicit-def: $vgpr6_vgpr7
	v_div_fixup_f64 v[0:1], v[2:3], v[0:1], v[4:5]
                                        ; implicit-def: $vgpr2_vgpr3
                                        ; implicit-def: $vgpr4_vgpr5
.LBB8_956:
	s_andn2_saveexec_b32 s0, s0
	s_cbranch_execz .LBB8_958
; %bb.957:
	v_cmp_gt_f64_e64 s15, 0x10000000, |v[2:3]|
	v_mul_f64 v[6:7], v[6:7], -0.5
	v_cndmask_b32_e64 v0, 0, 0x100, s15
	v_mul_f64 v[4:5], v[4:5], v[6:7]
	v_ldexp_f64 v[0:1], |v[2:3]|, v0
	v_rsq_f64_e32 v[2:3], v[0:1]
	v_cmp_class_f64_e64 vcc_lo, v[0:1], 0x260
	v_mul_f64 v[8:9], v[0:1], v[2:3]
	v_mul_f64 v[2:3], v[2:3], 0.5
	v_fma_f64 v[10:11], -v[2:3], v[8:9], 0.5
	v_fma_f64 v[8:9], v[8:9], v[10:11], v[8:9]
	v_fma_f64 v[2:3], v[2:3], v[10:11], v[2:3]
	v_fma_f64 v[10:11], -v[8:9], v[8:9], v[0:1]
	v_fma_f64 v[8:9], v[10:11], v[2:3], v[8:9]
	v_fma_f64 v[10:11], -v[8:9], v[8:9], v[0:1]
	v_fma_f64 v[2:3], v[10:11], v[2:3], v[8:9]
	v_cndmask_b32_e64 v8, 0, 0xffffff80, s15
	v_ldexp_f64 v[2:3], v[2:3], v8
	v_cndmask_b32_e32 v1, v3, v1, vcc_lo
	v_cndmask_b32_e32 v0, v2, v0, vcc_lo
	v_div_scale_f64 v[2:3], null, v[0:1], v[0:1], v[4:5]
	v_rcp_f64_e32 v[6:7], v[2:3]
	v_fma_f64 v[8:9], -v[2:3], v[6:7], 1.0
	v_fma_f64 v[6:7], v[6:7], v[8:9], v[6:7]
	v_fma_f64 v[8:9], -v[2:3], v[6:7], 1.0
	v_fma_f64 v[6:7], v[6:7], v[8:9], v[6:7]
	v_div_scale_f64 v[8:9], vcc_lo, v[4:5], v[0:1], v[4:5]
	v_mul_f64 v[10:11], v[8:9], v[6:7]
	v_fma_f64 v[2:3], -v[2:3], v[10:11], v[8:9]
	v_div_fmas_f64 v[2:3], v[2:3], v[6:7], v[10:11]
	v_div_fixup_f64 v[0:1], v[2:3], v[0:1], v[4:5]
.LBB8_958:
	s_or_b32 exec_lo, exec_lo, s0
.LBB8_959:
	s_or_b32 exec_lo, exec_lo, s14
	v_mul_lo_u32 v2, v14, s2
	s_and_b32 s14, s1, 0xff
	s_cmp_lt_i32 s14, 11
	v_ashrrev_i32_e32 v3, 31, v2
	v_add_co_u32 v4, vcc_lo, s8, v2
	v_add_co_ci_u32_e64 v5, null, s9, v3, vcc_lo
	s_cbranch_scc1 .LBB8_969
; %bb.960:
	s_and_b32 s15, 0xffff, s14
	s_mov_b32 s16, -1
	s_cmp_gt_i32 s15, 25
	s_mov_b32 s0, s7
	s_cbranch_scc0 .LBB8_997
; %bb.961:
	s_cmp_gt_i32 s15, 28
	s_mov_b32 s0, s7
	s_cbranch_scc0 .LBB8_981
; %bb.962:
	;; [unrolled: 4-line block ×4, first 2 shown]
	s_cmp_eq_u32 s15, 46
	s_mov_b32 s0, -1
	s_cbranch_scc0 .LBB8_970
; %bb.965:
	v_cvt_f32_f64_e32 v2, v[0:1]
	s_mov_b32 s0, 0
	s_mov_b32 s16, 0
	v_bfe_u32 v3, v2, 16, 1
	v_cmp_o_f32_e32 vcc_lo, v2, v2
	v_add3_u32 v2, v2, v3, 0x7fff
	v_mov_b32_e32 v3, 0x7fc0
	v_cndmask_b32_sdwa v2, v3, v2, vcc_lo dst_sel:DWORD dst_unused:UNUSED_PAD src0_sel:DWORD src1_sel:WORD_1
	global_store_dword v[4:5], v2, off
	s_branch .LBB8_971
.LBB8_966:
	s_or_b32 exec_lo, exec_lo, s13
	s_and_saveexec_b32 s0, s7
	s_cbranch_execnz .LBB8_1039
.LBB8_967:
	s_or_b32 exec_lo, exec_lo, s0
	s_and_saveexec_b32 s0, s16
	s_xor_b32 s0, exec_lo, s0
	s_cbranch_execz .LBB8_1040
.LBB8_968:
	v_cmp_neq_f64_e32 vcc_lo, 0, v[0:1]
	s_waitcnt vmcnt(0)
	v_cndmask_b32_e64 v2, 0, 1, vcc_lo
	global_store_byte v[4:5], v2, off
	s_or_b32 exec_lo, exec_lo, s0
	s_and_saveexec_b32 s0, s15
	s_xor_b32 s0, exec_lo, s0
	s_cbranch_execz .LBB8_1078
	s_branch .LBB8_1041
.LBB8_969:
	s_mov_b32 s17, 0
	s_mov_b32 s16, -1
	s_mov_b32 s0, s7
	s_branch .LBB8_1038
.LBB8_970:
	s_mov_b32 s16, 0
.LBB8_971:
	s_and_b32 vcc_lo, exec_lo, s16
	s_cbranch_vccz .LBB8_976
; %bb.972:
	s_cmp_eq_u32 s15, 44
	s_mov_b32 s0, -1
	s_cbranch_scc0 .LBB8_976
; %bb.973:
	v_cvt_f32_f64_e32 v2, v[0:1]
	v_mov_b32_e32 v3, 0xff
	s_mov_b32 s16, exec_lo
	v_bfe_u32 v6, v2, 23, 8
	v_cmpx_ne_u32_e32 0xff, v6
	s_cbranch_execz .LBB8_975
; %bb.974:
	v_and_b32_e32 v3, 0x400000, v2
	v_and_or_b32 v6, 0x3fffff, v2, v6
	v_lshrrev_b32_e32 v2, 23, v2
	v_cmp_ne_u32_e32 vcc_lo, 0, v3
	v_cmp_ne_u32_e64 s0, 0, v6
	s_and_b32 s0, vcc_lo, s0
	v_cndmask_b32_e64 v3, 0, 1, s0
	v_add_nc_u32_e32 v3, v2, v3
.LBB8_975:
	s_or_b32 exec_lo, exec_lo, s16
	s_mov_b32 s0, 0
	global_store_byte v[4:5], v3, off
.LBB8_976:
	s_mov_b32 s16, 0
.LBB8_977:
	s_and_b32 vcc_lo, exec_lo, s16
	s_cbranch_vccz .LBB8_980
; %bb.978:
	s_cmp_eq_u32 s15, 29
	s_mov_b32 s0, -1
	s_cbranch_scc0 .LBB8_980
; %bb.979:
	v_trunc_f64_e32 v[2:3], v[0:1]
	s_mov_b32 s0, 0
	s_mov_b32 s16, 0
	v_ldexp_f64 v[6:7], v[2:3], 0xffffffe0
	v_floor_f64_e32 v[6:7], v[6:7]
	v_fma_f64 v[2:3], 0xc1f00000, v[6:7], v[2:3]
	v_cvt_u32_f64_e32 v7, v[6:7]
	v_cvt_u32_f64_e32 v6, v[2:3]
	global_store_dwordx2 v[4:5], v[6:7], off
	s_branch .LBB8_981
.LBB8_980:
	s_mov_b32 s16, 0
.LBB8_981:
	s_and_b32 vcc_lo, exec_lo, s16
	s_cbranch_vccz .LBB8_996
; %bb.982:
	s_cmp_lt_i32 s15, 27
	s_mov_b32 s16, -1
	s_cbranch_scc1 .LBB8_988
; %bb.983:
	v_cvt_u32_f64_e32 v2, v[0:1]
	s_cmp_gt_i32 s15, 27
	s_cbranch_scc0 .LBB8_985
; %bb.984:
	s_mov_b32 s16, 0
	global_store_dword v[4:5], v2, off
.LBB8_985:
	s_andn2_b32 vcc_lo, exec_lo, s16
	s_cbranch_vccnz .LBB8_987
; %bb.986:
	global_store_short v[4:5], v2, off
.LBB8_987:
	s_mov_b32 s16, 0
.LBB8_988:
	s_andn2_b32 vcc_lo, exec_lo, s16
	s_cbranch_vccnz .LBB8_996
; %bb.989:
	v_cvt_f32_f64_e32 v2, v[0:1]
	v_mov_b32_e32 v6, 0x80
	s_mov_b32 s16, exec_lo
	v_and_b32_e32 v3, 0x7fffffff, v2
	v_cmpx_gt_u32_e32 0x43800000, v3
	s_cbranch_execz .LBB8_995
; %bb.990:
	v_cmp_lt_u32_e32 vcc_lo, 0x3bffffff, v3
	s_mov_b32 s17, 0
                                        ; implicit-def: $vgpr3
	s_and_saveexec_b32 s18, vcc_lo
	s_xor_b32 s18, exec_lo, s18
	s_cbranch_execz .LBB8_1093
; %bb.991:
	v_bfe_u32 v3, v2, 20, 1
	s_mov_b32 s17, exec_lo
	v_add3_u32 v3, v2, v3, 0x487ffff
	v_lshrrev_b32_e32 v3, 20, v3
	s_andn2_saveexec_b32 s18, s18
	s_cbranch_execnz .LBB8_1094
.LBB8_992:
	s_or_b32 exec_lo, exec_lo, s18
	v_mov_b32_e32 v6, 0
	s_and_saveexec_b32 s18, s17
.LBB8_993:
	v_lshrrev_b32_e32 v2, 24, v2
	v_and_or_b32 v6, 0x80, v2, v3
.LBB8_994:
	s_or_b32 exec_lo, exec_lo, s18
.LBB8_995:
	s_or_b32 exec_lo, exec_lo, s16
	global_store_byte v[4:5], v6, off
.LBB8_996:
	s_mov_b32 s16, 0
.LBB8_997:
	s_and_b32 vcc_lo, exec_lo, s16
	s_mov_b32 s16, 0
	s_cbranch_vccz .LBB8_1037
; %bb.998:
	s_cmp_gt_i32 s15, 22
	s_mov_b32 s17, -1
	s_cbranch_scc0 .LBB8_1030
; %bb.999:
	s_cmp_lt_i32 s15, 24
	s_cbranch_scc1 .LBB8_1019
; %bb.1000:
	s_cmp_gt_i32 s15, 24
	s_cbranch_scc0 .LBB8_1008
; %bb.1001:
	v_cvt_f32_f64_e32 v2, v[0:1]
	v_mov_b32_e32 v6, 0x80
	s_mov_b32 s17, exec_lo
	v_and_b32_e32 v3, 0x7fffffff, v2
	v_cmpx_gt_u32_e32 0x47800000, v3
	s_cbranch_execz .LBB8_1007
; %bb.1002:
	v_cmp_lt_u32_e32 vcc_lo, 0x37ffffff, v3
	s_mov_b32 s18, 0
                                        ; implicit-def: $vgpr3
	s_and_saveexec_b32 s19, vcc_lo
	s_xor_b32 s19, exec_lo, s19
	s_cbranch_execz .LBB8_1231
; %bb.1003:
	v_bfe_u32 v3, v2, 21, 1
	s_mov_b32 s18, exec_lo
	v_add3_u32 v3, v2, v3, 0x88fffff
	v_lshrrev_b32_e32 v3, 21, v3
	s_andn2_saveexec_b32 s19, s19
	s_cbranch_execnz .LBB8_1232
.LBB8_1004:
	s_or_b32 exec_lo, exec_lo, s19
	v_mov_b32_e32 v6, 0
	s_and_saveexec_b32 s19, s18
.LBB8_1005:
	v_lshrrev_b32_e32 v2, 24, v2
	v_and_or_b32 v6, 0x80, v2, v3
.LBB8_1006:
	s_or_b32 exec_lo, exec_lo, s19
.LBB8_1007:
	s_or_b32 exec_lo, exec_lo, s17
	s_mov_b32 s17, 0
	global_store_byte v[4:5], v6, off
.LBB8_1008:
	s_and_b32 vcc_lo, exec_lo, s17
	s_cbranch_vccz .LBB8_1018
; %bb.1009:
	v_cvt_f32_f64_e32 v2, v[0:1]
	s_mov_b32 s17, exec_lo
                                        ; implicit-def: $vgpr3
	v_and_b32_e32 v6, 0x7fffffff, v2
	v_cmpx_gt_u32_e32 0x43f00000, v6
	s_xor_b32 s17, exec_lo, s17
	s_cbranch_execz .LBB8_1015
; %bb.1010:
	s_mov_b32 s18, exec_lo
                                        ; implicit-def: $vgpr3
	v_cmpx_lt_u32_e32 0x3c7fffff, v6
	s_xor_b32 s18, exec_lo, s18
; %bb.1011:
	v_bfe_u32 v3, v2, 20, 1
	v_add3_u32 v3, v2, v3, 0x407ffff
	v_and_b32_e32 v6, 0xff00000, v3
	v_lshrrev_b32_e32 v3, 20, v3
	v_cmp_ne_u32_e32 vcc_lo, 0x7f00000, v6
	v_cndmask_b32_e32 v3, 0x7e, v3, vcc_lo
; %bb.1012:
	s_andn2_saveexec_b32 s18, s18
; %bb.1013:
	v_add_f32_e64 v3, 0x46800000, |v2|
; %bb.1014:
	s_or_b32 exec_lo, exec_lo, s18
                                        ; implicit-def: $vgpr6
.LBB8_1015:
	s_andn2_saveexec_b32 s17, s17
; %bb.1016:
	v_mov_b32_e32 v3, 0x7f
	v_cmp_lt_u32_e32 vcc_lo, 0x7f800000, v6
	v_cndmask_b32_e32 v3, 0x7e, v3, vcc_lo
; %bb.1017:
	s_or_b32 exec_lo, exec_lo, s17
	v_lshrrev_b32_e32 v2, 24, v2
	v_and_or_b32 v2, 0x80, v2, v3
	global_store_byte v[4:5], v2, off
.LBB8_1018:
	s_mov_b32 s17, 0
.LBB8_1019:
	s_andn2_b32 vcc_lo, exec_lo, s17
	s_cbranch_vccnz .LBB8_1029
; %bb.1020:
	v_cvt_f32_f64_e32 v2, v[0:1]
	s_mov_b32 s17, exec_lo
                                        ; implicit-def: $vgpr3
	v_and_b32_e32 v6, 0x7fffffff, v2
	v_cmpx_gt_u32_e32 0x47800000, v6
	s_xor_b32 s17, exec_lo, s17
	s_cbranch_execz .LBB8_1026
; %bb.1021:
	s_mov_b32 s18, exec_lo
                                        ; implicit-def: $vgpr3
	v_cmpx_lt_u32_e32 0x387fffff, v6
	s_xor_b32 s18, exec_lo, s18
; %bb.1022:
	v_bfe_u32 v3, v2, 21, 1
	v_add3_u32 v3, v2, v3, 0x80fffff
	v_lshrrev_b32_e32 v3, 21, v3
; %bb.1023:
	s_andn2_saveexec_b32 s18, s18
; %bb.1024:
	v_add_f32_e64 v3, 0x43000000, |v2|
; %bb.1025:
	s_or_b32 exec_lo, exec_lo, s18
                                        ; implicit-def: $vgpr6
.LBB8_1026:
	s_andn2_saveexec_b32 s17, s17
; %bb.1027:
	v_mov_b32_e32 v3, 0x7f
	v_cmp_lt_u32_e32 vcc_lo, 0x7f800000, v6
	v_cndmask_b32_e32 v3, 0x7c, v3, vcc_lo
; %bb.1028:
	s_or_b32 exec_lo, exec_lo, s17
	v_lshrrev_b32_e32 v2, 24, v2
	v_and_or_b32 v2, 0x80, v2, v3
	global_store_byte v[4:5], v2, off
.LBB8_1029:
	s_mov_b32 s17, 0
.LBB8_1030:
	s_andn2_b32 vcc_lo, exec_lo, s17
	s_mov_b32 s17, 0
	s_cbranch_vccnz .LBB8_1038
; %bb.1031:
	s_cmp_gt_i32 s15, 14
	s_mov_b32 s17, -1
	s_cbranch_scc0 .LBB8_1035
; %bb.1032:
	s_cmp_eq_u32 s15, 15
	s_mov_b32 s0, -1
	s_cbranch_scc0 .LBB8_1034
; %bb.1033:
	v_cvt_f32_f64_e32 v2, v[0:1]
	s_mov_b32 s0, 0
	v_bfe_u32 v3, v2, 16, 1
	v_cmp_o_f32_e32 vcc_lo, v2, v2
	v_add3_u32 v2, v2, v3, 0x7fff
	v_mov_b32_e32 v3, 0x7fc0
	v_cndmask_b32_sdwa v2, v3, v2, vcc_lo dst_sel:DWORD dst_unused:UNUSED_PAD src0_sel:DWORD src1_sel:WORD_1
	global_store_short v[4:5], v2, off
.LBB8_1034:
	s_mov_b32 s17, 0
.LBB8_1035:
	s_and_b32 vcc_lo, exec_lo, s17
	s_mov_b32 s17, 0
	s_cbranch_vccz .LBB8_1038
; %bb.1036:
	s_cmp_lg_u32 s15, 11
	s_mov_b32 s17, -1
	s_cselect_b32 s15, -1, 0
	s_andn2_b32 s0, s0, exec_lo
	s_and_b32 s15, s15, exec_lo
	s_or_b32 s0, s0, s15
	s_branch .LBB8_1038
.LBB8_1037:
	s_mov_b32 s17, 0
.LBB8_1038:
	s_andn2_b32 s7, s7, exec_lo
	s_and_b32 s0, s0, exec_lo
	s_and_b32 s15, s16, exec_lo
	s_and_b32 s16, s17, exec_lo
	s_or_b32 s7, s7, s0
	s_or_b32 exec_lo, exec_lo, s13
	s_and_saveexec_b32 s0, s7
	s_cbranch_execz .LBB8_967
.LBB8_1039:
	s_or_b32 s12, s12, exec_lo
	s_andn2_b32 s16, s16, exec_lo
	s_trap 2
	s_or_b32 exec_lo, exec_lo, s0
	s_and_saveexec_b32 s0, s16
	s_xor_b32 s0, exec_lo, s0
	s_cbranch_execnz .LBB8_968
.LBB8_1040:
	s_or_b32 exec_lo, exec_lo, s0
	s_and_saveexec_b32 s0, s15
	s_xor_b32 s0, exec_lo, s0
	s_cbranch_execz .LBB8_1078
.LBB8_1041:
	s_sext_i32_i16 s13, s14
	s_mov_b32 s7, -1
	s_cmp_lt_i32 s13, 5
	s_cbranch_scc1 .LBB8_1062
; %bb.1042:
	s_cmp_lt_i32 s13, 8
	s_cbranch_scc1 .LBB8_1052
; %bb.1043:
	;; [unrolled: 3-line block ×3, first 2 shown]
	s_cmp_gt_i32 s13, 9
	s_cbranch_scc0 .LBB8_1046
; %bb.1045:
	s_waitcnt vmcnt(0)
	v_mov_b32_e32 v2, 0
	s_mov_b32 s7, 0
	v_mov_b32_e32 v3, v2
	global_store_dwordx4 v[4:5], v[0:3], off
.LBB8_1046:
	s_andn2_b32 vcc_lo, exec_lo, s7
	s_cbranch_vccnz .LBB8_1048
; %bb.1047:
	s_waitcnt vmcnt(0)
	v_cvt_f32_f64_e32 v2, v[0:1]
	v_mov_b32_e32 v3, 0
	global_store_dwordx2 v[4:5], v[2:3], off
.LBB8_1048:
	s_mov_b32 s7, 0
.LBB8_1049:
	s_andn2_b32 vcc_lo, exec_lo, s7
	s_cbranch_vccnz .LBB8_1051
; %bb.1050:
	s_waitcnt vmcnt(0)
	v_and_or_b32 v2, 0x1ff, v1, v0
	v_lshrrev_b32_e32 v3, 8, v1
	v_bfe_u32 v6, v1, 20, 11
	v_cmp_ne_u32_e32 vcc_lo, 0, v2
	v_sub_nc_u32_e32 v7, 0x3f1, v6
	v_add_nc_u32_e32 v6, 0xfffffc10, v6
	v_cndmask_b32_e64 v2, 0, 1, vcc_lo
	v_and_or_b32 v2, 0xffe, v3, v2
	v_med3_i32 v3, v7, 0, 13
	v_or_b32_e32 v7, 0x1000, v2
	v_lshrrev_b32_e32 v8, v3, v7
	v_lshlrev_b32_e32 v3, v3, v8
	v_cmp_ne_u32_e32 vcc_lo, v3, v7
	v_lshl_or_b32 v7, v6, 12, v2
	v_cndmask_b32_e64 v3, 0, 1, vcc_lo
	v_cmp_gt_i32_e32 vcc_lo, 1, v6
	v_or_b32_e32 v3, v8, v3
	v_cndmask_b32_e32 v3, v7, v3, vcc_lo
	v_and_b32_e32 v7, 7, v3
	v_lshrrev_b32_e32 v3, 2, v3
	v_cmp_lt_i32_e32 vcc_lo, 5, v7
	v_cndmask_b32_e64 v8, 0, 1, vcc_lo
	v_cmp_eq_u32_e32 vcc_lo, 3, v7
	v_cndmask_b32_e64 v7, 0, 1, vcc_lo
	v_cmp_ne_u32_e32 vcc_lo, 0, v2
	v_or_b32_e32 v7, v7, v8
	v_mov_b32_e32 v8, 0x7e00
	v_add_nc_u32_e32 v3, v3, v7
	v_cndmask_b32_e32 v2, 0x7c00, v8, vcc_lo
	v_cmp_gt_i32_e32 vcc_lo, 31, v6
	v_cndmask_b32_e32 v3, 0x7c00, v3, vcc_lo
	v_cmp_eq_u32_e32 vcc_lo, 0x40f, v6
	v_cndmask_b32_e32 v2, v3, v2, vcc_lo
	v_lshrrev_b32_e32 v3, 16, v1
	v_and_or_b32 v2, 0x8000, v3, v2
	v_and_b32_e32 v2, 0xffff, v2
	global_store_dword v[4:5], v2, off
.LBB8_1051:
	s_mov_b32 s7, 0
.LBB8_1052:
	s_andn2_b32 vcc_lo, exec_lo, s7
	s_cbranch_vccnz .LBB8_1061
; %bb.1053:
	s_sext_i32_i16 s13, s14
	s_mov_b32 s7, -1
	s_cmp_lt_i32 s13, 6
	s_cbranch_scc1 .LBB8_1059
; %bb.1054:
	s_cmp_gt_i32 s13, 6
	s_cbranch_scc0 .LBB8_1056
; %bb.1055:
	s_mov_b32 s7, 0
	global_store_dwordx2 v[4:5], v[0:1], off
.LBB8_1056:
	s_andn2_b32 vcc_lo, exec_lo, s7
	s_cbranch_vccnz .LBB8_1058
; %bb.1057:
	s_waitcnt vmcnt(0)
	v_cvt_f32_f64_e32 v2, v[0:1]
	global_store_dword v[4:5], v2, off
.LBB8_1058:
	s_mov_b32 s7, 0
.LBB8_1059:
	s_andn2_b32 vcc_lo, exec_lo, s7
	s_cbranch_vccnz .LBB8_1061
; %bb.1060:
	s_waitcnt vmcnt(0)
	v_and_or_b32 v2, 0x1ff, v1, v0
	v_lshrrev_b32_e32 v3, 8, v1
	v_bfe_u32 v6, v1, 20, 11
	v_cmp_ne_u32_e32 vcc_lo, 0, v2
	v_sub_nc_u32_e32 v7, 0x3f1, v6
	v_add_nc_u32_e32 v6, 0xfffffc10, v6
	v_cndmask_b32_e64 v2, 0, 1, vcc_lo
	v_and_or_b32 v2, 0xffe, v3, v2
	v_med3_i32 v3, v7, 0, 13
	v_or_b32_e32 v7, 0x1000, v2
	v_lshrrev_b32_e32 v8, v3, v7
	v_lshlrev_b32_e32 v3, v3, v8
	v_cmp_ne_u32_e32 vcc_lo, v3, v7
	v_lshl_or_b32 v7, v6, 12, v2
	v_cndmask_b32_e64 v3, 0, 1, vcc_lo
	v_cmp_gt_i32_e32 vcc_lo, 1, v6
	v_or_b32_e32 v3, v8, v3
	v_cndmask_b32_e32 v3, v7, v3, vcc_lo
	v_and_b32_e32 v7, 7, v3
	v_lshrrev_b32_e32 v3, 2, v3
	v_cmp_lt_i32_e32 vcc_lo, 5, v7
	v_cndmask_b32_e64 v8, 0, 1, vcc_lo
	v_cmp_eq_u32_e32 vcc_lo, 3, v7
	v_cndmask_b32_e64 v7, 0, 1, vcc_lo
	v_cmp_ne_u32_e32 vcc_lo, 0, v2
	v_or_b32_e32 v7, v7, v8
	v_mov_b32_e32 v8, 0x7e00
	v_add_nc_u32_e32 v3, v3, v7
	v_cndmask_b32_e32 v2, 0x7c00, v8, vcc_lo
	v_cmp_gt_i32_e32 vcc_lo, 31, v6
	v_cndmask_b32_e32 v3, 0x7c00, v3, vcc_lo
	v_cmp_eq_u32_e32 vcc_lo, 0x40f, v6
	v_cndmask_b32_e32 v2, v3, v2, vcc_lo
	v_lshrrev_b32_e32 v3, 16, v1
	v_and_or_b32 v2, 0x8000, v3, v2
	global_store_short v[4:5], v2, off
.LBB8_1061:
	s_mov_b32 s7, 0
.LBB8_1062:
	s_andn2_b32 vcc_lo, exec_lo, s7
	s_cbranch_vccnz .LBB8_1078
; %bb.1063:
	s_sext_i32_i16 s13, s14
	s_mov_b32 s7, -1
	s_cmp_lt_i32 s13, 2
	s_cbranch_scc1 .LBB8_1073
; %bb.1064:
	s_cmp_lt_i32 s13, 3
	s_cbranch_scc1 .LBB8_1070
; %bb.1065:
	s_cmp_gt_i32 s13, 3
	s_cbranch_scc0 .LBB8_1067
; %bb.1066:
	s_waitcnt vmcnt(0)
	v_trunc_f64_e32 v[2:3], v[0:1]
	s_mov_b32 s7, 0
	v_ldexp_f64 v[6:7], v[2:3], 0xffffffe0
	v_floor_f64_e32 v[6:7], v[6:7]
	v_fma_f64 v[2:3], 0xc1f00000, v[6:7], v[2:3]
	v_cvt_i32_f64_e32 v7, v[6:7]
	v_cvt_u32_f64_e32 v6, v[2:3]
	global_store_dwordx2 v[4:5], v[6:7], off
.LBB8_1067:
	s_andn2_b32 vcc_lo, exec_lo, s7
	s_cbranch_vccnz .LBB8_1069
; %bb.1068:
	s_waitcnt vmcnt(0)
	v_cvt_i32_f64_e32 v2, v[0:1]
	global_store_dword v[4:5], v2, off
.LBB8_1069:
	s_mov_b32 s7, 0
.LBB8_1070:
	s_andn2_b32 vcc_lo, exec_lo, s7
	s_cbranch_vccnz .LBB8_1072
; %bb.1071:
	s_waitcnt vmcnt(0)
	v_cvt_i32_f64_e32 v2, v[0:1]
	global_store_short v[4:5], v2, off
.LBB8_1072:
	s_mov_b32 s7, 0
.LBB8_1073:
	s_andn2_b32 vcc_lo, exec_lo, s7
	s_cbranch_vccnz .LBB8_1078
; %bb.1074:
	s_sext_i32_i16 s7, s14
	s_cmp_gt_i32 s7, 0
	s_mov_b32 s7, -1
	s_cbranch_scc0 .LBB8_1076
; %bb.1075:
	s_waitcnt vmcnt(0)
	v_cvt_i32_f64_e32 v2, v[0:1]
	s_mov_b32 s7, 0
	global_store_byte v[4:5], v2, off
.LBB8_1076:
	s_andn2_b32 vcc_lo, exec_lo, s7
	s_cbranch_vccnz .LBB8_1078
; %bb.1077:
	v_trunc_f64_e32 v[0:1], v[0:1]
	s_waitcnt vmcnt(0)
	v_ldexp_f64 v[2:3], v[0:1], 0xffffffe0
	v_floor_f64_e32 v[2:3], v[2:3]
	v_fma_f64 v[0:1], 0xc1f00000, v[2:3], v[0:1]
	v_cvt_u32_f64_e32 v0, v[0:1]
	global_store_byte v[4:5], v0, off
.LBB8_1078:
	s_or_b32 exec_lo, exec_lo, s0
	s_and_b32 s7, s12, exec_lo
                                        ; implicit-def: $vgpr14
.LBB8_1079:
	s_or_saveexec_b32 s6, s6
	s_mov_b32 s0, 0
                                        ; implicit-def: $sgpr12
                                        ; implicit-def: $vgpr0_vgpr1
                                        ; implicit-def: $vgpr12_vgpr13
	s_xor_b32 exec_lo, exec_lo, s6
	s_cbranch_execz .LBB8_1724
; %bb.1080:
	v_mul_lo_u32 v8, s3, v14
	s_and_b32 s5, 0xffff, s5
	s_cmp_lt_i32 s5, 11
	v_ashrrev_i32_e32 v1, 31, v8
	v_add_co_u32 v0, vcc_lo, s10, v8
	v_add_co_ci_u32_e64 v1, null, s11, v1, vcc_lo
	s_cbranch_scc1 .LBB8_1087
; %bb.1081:
	s_cmp_gt_i32 s5, 25
	s_mov_b32 s12, 0
	s_cbranch_scc0 .LBB8_1089
; %bb.1082:
	s_cmp_gt_i32 s5, 28
	s_cbranch_scc0 .LBB8_1090
; %bb.1083:
	s_cmp_gt_i32 s5, 43
	;; [unrolled: 3-line block ×3, first 2 shown]
	s_cbranch_scc0 .LBB8_1092
; %bb.1085:
	s_cmp_eq_u32 s5, 46
	s_cbranch_scc0 .LBB8_1095
; %bb.1086:
	global_load_dword v2, v[0:1], off
	s_mov_b32 s13, -1
	s_waitcnt vmcnt(0)
	v_lshlrev_b32_e32 v2, 16, v2
	v_cvt_f64_f32_e32 v[2:3], v2
	s_branch .LBB8_1097
.LBB8_1087:
	s_mov_b32 s13, 0
	s_mov_b32 s4, s7
                                        ; implicit-def: $vgpr2_vgpr3
	s_cbranch_execnz .LBB8_1160
.LBB8_1088:
	s_andn2_b32 vcc_lo, exec_lo, s13
	s_cbranch_vccz .LBB8_1205
	s_branch .LBB8_1722
.LBB8_1089:
	s_mov_b32 s13, 0
                                        ; implicit-def: $vgpr2_vgpr3
	s_cbranch_execnz .LBB8_1127
	s_branch .LBB8_1156
.LBB8_1090:
	s_mov_b32 s4, -1
	s_mov_b32 s13, 0
                                        ; implicit-def: $vgpr2_vgpr3
	s_branch .LBB8_1106
.LBB8_1091:
	s_mov_b32 s13, 0
                                        ; implicit-def: $vgpr2_vgpr3
	s_cbranch_execnz .LBB8_1102
	s_branch .LBB8_1105
.LBB8_1092:
	s_mov_b32 s4, -1
	s_branch .LBB8_1096
.LBB8_1093:
	s_andn2_saveexec_b32 s18, s18
	s_cbranch_execz .LBB8_992
.LBB8_1094:
	v_add_f32_e64 v3, 0x46000000, |v2|
	s_andn2_b32 s17, s17, exec_lo
	v_and_b32_e32 v3, 0xff, v3
	v_cmp_ne_u32_e32 vcc_lo, 0, v3
	s_and_b32 s19, vcc_lo, exec_lo
	s_or_b32 s17, s17, s19
	s_or_b32 exec_lo, exec_lo, s18
	v_mov_b32_e32 v6, 0
	s_and_saveexec_b32 s18, s17
	s_cbranch_execnz .LBB8_993
	s_branch .LBB8_994
.LBB8_1095:
	s_mov_b32 s0, -1
.LBB8_1096:
	s_mov_b32 s13, 0
                                        ; implicit-def: $vgpr2_vgpr3
.LBB8_1097:
	s_and_b32 vcc_lo, exec_lo, s4
	s_cbranch_vccz .LBB8_1100
; %bb.1098:
	s_cmp_eq_u32 s5, 44
	s_cbranch_scc0 .LBB8_1101
; %bb.1099:
	global_load_ubyte v4, v[0:1], off
	s_mov_b32 s0, 0
	s_mov_b32 s13, -1
	s_waitcnt vmcnt(0)
	v_lshlrev_b32_e32 v2, 23, v4
	v_cmp_ne_u32_e32 vcc_lo, 0xff, v4
	v_cvt_f64_f32_e32 v[2:3], v2
	v_cndmask_b32_e32 v2, 0x20000000, v2, vcc_lo
	v_cndmask_b32_e32 v3, 0x7ff80000, v3, vcc_lo
	v_cmp_ne_u32_e32 vcc_lo, 0, v4
	v_cndmask_b32_e32 v3, 0x38000000, v3, vcc_lo
	v_cndmask_b32_e32 v2, 0, v2, vcc_lo
.LBB8_1100:
	s_branch .LBB8_1105
.LBB8_1101:
	s_mov_b32 s0, -1
                                        ; implicit-def: $vgpr2_vgpr3
	s_branch .LBB8_1105
.LBB8_1102:
	s_cmp_eq_u32 s5, 29
	s_cbranch_scc0 .LBB8_1104
; %bb.1103:
	global_load_dwordx2 v[2:3], v[0:1], off
	s_mov_b32 s0, 0
	s_mov_b32 s13, -1
	s_mov_b32 s4, 0
	s_waitcnt vmcnt(0)
	v_cvt_f64_u32_e32 v[3:4], v3
	v_cvt_f64_u32_e32 v[5:6], v2
	v_ldexp_f64 v[3:4], v[3:4], 32
	v_add_f64 v[2:3], v[3:4], v[5:6]
	s_branch .LBB8_1106
.LBB8_1104:
	s_mov_b32 s0, -1
                                        ; implicit-def: $vgpr2_vgpr3
.LBB8_1105:
	s_mov_b32 s4, 0
.LBB8_1106:
	s_and_b32 vcc_lo, exec_lo, s4
	s_cbranch_vccz .LBB8_1126
; %bb.1107:
	s_cmp_lt_i32 s5, 27
	s_cbranch_scc1 .LBB8_1110
; %bb.1108:
	s_cmp_gt_i32 s5, 27
	s_cbranch_scc0 .LBB8_1111
; %bb.1109:
	global_load_dword v2, v[0:1], off
	s_mov_b32 s4, 0
	s_waitcnt vmcnt(0)
	v_cvt_f64_u32_e32 v[2:3], v2
	s_branch .LBB8_1112
.LBB8_1110:
	s_mov_b32 s4, -1
                                        ; implicit-def: $vgpr2_vgpr3
	s_branch .LBB8_1115
.LBB8_1111:
	s_mov_b32 s4, -1
                                        ; implicit-def: $vgpr2_vgpr3
.LBB8_1112:
	s_andn2_b32 vcc_lo, exec_lo, s4
	s_cbranch_vccnz .LBB8_1114
; %bb.1113:
	global_load_ushort v2, v[0:1], off
	s_waitcnt vmcnt(0)
	v_cvt_f64_u32_e32 v[2:3], v2
.LBB8_1114:
	s_mov_b32 s4, 0
.LBB8_1115:
	s_andn2_b32 vcc_lo, exec_lo, s4
	s_cbranch_vccnz .LBB8_1125
; %bb.1116:
	global_load_ubyte v4, v[0:1], off
	s_mov_b32 s4, 0
	s_mov_b32 s13, exec_lo
	s_waitcnt vmcnt(0)
	v_cmpx_lt_i16_e32 0x7f, v4
	s_xor_b32 s13, exec_lo, s13
	s_cbranch_execz .LBB8_1120
; %bb.1117:
	s_mov_b32 s4, -1
	s_mov_b32 s14, exec_lo
	v_cmpx_eq_u16_e32 0x80, v4
; %bb.1118:
	s_xor_b32 s4, exec_lo, -1
; %bb.1119:
	s_or_b32 exec_lo, exec_lo, s14
	s_and_b32 s4, s4, exec_lo
.LBB8_1120:
	s_or_saveexec_b32 s13, s13
	v_bfrev_b32_e32 v2, 4
	v_mov_b32_e32 v3, 0x7ff80000
	s_xor_b32 exec_lo, exec_lo, s13
; %bb.1121:
	v_cmp_ne_u16_e32 vcc_lo, 0, v4
	v_mov_b32_e32 v2, 0
	v_mov_b32_e32 v3, 0
	s_andn2_b32 s4, s4, exec_lo
	s_and_b32 s14, vcc_lo, exec_lo
	s_or_b32 s4, s4, s14
; %bb.1122:
	s_or_b32 exec_lo, exec_lo, s13
	s_and_saveexec_b32 s13, s4
	s_cbranch_execz .LBB8_1124
; %bb.1123:
	v_and_b32_e32 v2, 0xffff, v4
	v_lshlrev_b32_e32 v4, 24, v4
	v_and_b32_e32 v3, 7, v2
	v_bfe_u32 v7, v2, 3, 4
	v_ffbh_u32_e32 v5, v3
	v_cmp_eq_u32_e32 vcc_lo, 0, v7
	v_min_u32_e32 v5, 32, v5
	v_subrev_nc_u32_e32 v6, 28, v5
	v_sub_nc_u32_e32 v5, 29, v5
	v_lshlrev_b32_e32 v2, v6, v2
	v_cndmask_b32_e32 v5, v7, v5, vcc_lo
	v_and_b32_e32 v2, 7, v2
	v_cndmask_b32_e32 v2, v3, v2, vcc_lo
	v_and_b32_e32 v3, 0x80000000, v4
	v_lshl_add_u32 v4, v5, 23, 0x3b800000
	v_lshlrev_b32_e32 v2, 20, v2
	v_or3_b32 v2, v3, v4, v2
	v_cvt_f64_f32_e32 v[2:3], v2
.LBB8_1124:
	s_or_b32 exec_lo, exec_lo, s13
.LBB8_1125:
	s_mov_b32 s13, -1
.LBB8_1126:
	s_branch .LBB8_1156
.LBB8_1127:
	s_cmp_gt_i32 s5, 22
	s_cbranch_scc0 .LBB8_1139
; %bb.1128:
	s_cmp_lt_i32 s5, 24
	s_cbranch_scc1 .LBB8_1140
; %bb.1129:
	s_cmp_gt_i32 s5, 24
	s_cbranch_scc0 .LBB8_1141
; %bb.1130:
	global_load_ubyte v4, v[0:1], off
	s_mov_b32 s4, 0
	s_mov_b32 s12, exec_lo
	s_waitcnt vmcnt(0)
	v_cmpx_lt_i16_e32 0x7f, v4
	s_xor_b32 s12, exec_lo, s12
	s_cbranch_execz .LBB8_1134
; %bb.1131:
	s_mov_b32 s4, -1
	s_mov_b32 s13, exec_lo
	v_cmpx_eq_u16_e32 0x80, v4
; %bb.1132:
	s_xor_b32 s4, exec_lo, -1
; %bb.1133:
	s_or_b32 exec_lo, exec_lo, s13
	s_and_b32 s4, s4, exec_lo
.LBB8_1134:
	s_or_saveexec_b32 s12, s12
	v_bfrev_b32_e32 v2, 4
	v_mov_b32_e32 v3, 0x7ff80000
	s_xor_b32 exec_lo, exec_lo, s12
; %bb.1135:
	v_cmp_ne_u16_e32 vcc_lo, 0, v4
	v_mov_b32_e32 v2, 0
	v_mov_b32_e32 v3, 0
	s_andn2_b32 s4, s4, exec_lo
	s_and_b32 s13, vcc_lo, exec_lo
	s_or_b32 s4, s4, s13
; %bb.1136:
	s_or_b32 exec_lo, exec_lo, s12
	s_and_saveexec_b32 s12, s4
	s_cbranch_execz .LBB8_1138
; %bb.1137:
	v_and_b32_e32 v2, 0xffff, v4
	v_lshlrev_b32_e32 v4, 24, v4
	v_and_b32_e32 v3, 3, v2
	v_bfe_u32 v7, v2, 2, 5
	v_ffbh_u32_e32 v5, v3
	v_cmp_eq_u32_e32 vcc_lo, 0, v7
	v_min_u32_e32 v5, 32, v5
	v_subrev_nc_u32_e32 v6, 29, v5
	v_sub_nc_u32_e32 v5, 30, v5
	v_lshlrev_b32_e32 v2, v6, v2
	v_cndmask_b32_e32 v5, v7, v5, vcc_lo
	v_and_b32_e32 v2, 3, v2
	v_cndmask_b32_e32 v2, v3, v2, vcc_lo
	v_and_b32_e32 v3, 0x80000000, v4
	v_lshl_add_u32 v4, v5, 23, 0x37800000
	v_lshlrev_b32_e32 v2, 21, v2
	v_or3_b32 v2, v3, v4, v2
	v_cvt_f64_f32_e32 v[2:3], v2
.LBB8_1138:
	s_or_b32 exec_lo, exec_lo, s12
	s_mov_b32 s4, 0
	s_branch .LBB8_1142
.LBB8_1139:
                                        ; implicit-def: $vgpr2_vgpr3
	s_mov_b32 s12, 0
	s_branch .LBB8_1148
.LBB8_1140:
	s_mov_b32 s4, -1
                                        ; implicit-def: $vgpr2_vgpr3
	s_branch .LBB8_1145
.LBB8_1141:
	s_mov_b32 s4, -1
                                        ; implicit-def: $vgpr2_vgpr3
.LBB8_1142:
	s_and_b32 vcc_lo, exec_lo, s4
	s_cbranch_vccz .LBB8_1144
; %bb.1143:
	global_load_ubyte v2, v[0:1], off
	s_waitcnt vmcnt(0)
	v_lshlrev_b32_e32 v2, 24, v2
	v_and_b32_e32 v3, 0x7f000000, v2
	v_ffbh_u32_e32 v4, v3
	v_add_nc_u32_e32 v6, 0x1000000, v3
	v_cmp_ne_u32_e32 vcc_lo, 0, v3
	v_min_u32_e32 v4, 32, v4
	v_sub_nc_u32_e64 v4, v4, 4 clamp
	v_lshlrev_b32_e32 v5, v4, v3
	v_lshlrev_b32_e32 v4, 23, v4
	v_lshrrev_b32_e32 v5, 4, v5
	v_sub_nc_u32_e32 v4, v5, v4
	v_ashrrev_i32_e32 v5, 8, v6
	v_add_nc_u32_e32 v4, 0x3c000000, v4
	v_and_or_b32 v4, 0x7f800000, v5, v4
	v_cndmask_b32_e32 v3, 0, v4, vcc_lo
	v_and_or_b32 v2, 0x80000000, v2, v3
	v_cvt_f64_f32_e32 v[2:3], v2
.LBB8_1144:
	s_mov_b32 s4, 0
.LBB8_1145:
	s_andn2_b32 vcc_lo, exec_lo, s4
	s_cbranch_vccnz .LBB8_1147
; %bb.1146:
	global_load_ubyte v2, v[0:1], off
	s_waitcnt vmcnt(0)
	v_lshlrev_b32_e32 v3, 25, v2
	v_lshlrev_b16 v2, 8, v2
	v_lshrrev_b32_e32 v4, 4, v3
	v_and_or_b32 v5, 0x7f00, v2, 0.5
	v_cmp_gt_u32_e32 vcc_lo, 0x8000000, v3
	v_bfe_i32 v2, v2, 0, 16
	v_or_b32_e32 v4, 0x70000000, v4
	v_add_f32_e32 v5, -0.5, v5
	v_mul_f32_e32 v4, 0x7800000, v4
	v_cndmask_b32_e32 v3, v4, v5, vcc_lo
	v_and_or_b32 v2, 0x80000000, v2, v3
	v_cvt_f64_f32_e32 v[2:3], v2
.LBB8_1147:
	s_mov_b32 s13, -1
	s_mov_b32 s12, 0
	s_cbranch_execnz .LBB8_1156
.LBB8_1148:
	s_cmp_gt_i32 s5, 14
	s_cbranch_scc0 .LBB8_1151
; %bb.1149:
	s_cmp_eq_u32 s5, 15
	s_cbranch_scc0 .LBB8_1152
; %bb.1150:
	global_load_ushort v2, v[0:1], off
	s_mov_b32 s0, 0
	s_mov_b32 s13, -1
	s_waitcnt vmcnt(0)
	v_lshlrev_b32_e32 v2, 16, v2
	v_cvt_f64_f32_e32 v[2:3], v2
	s_branch .LBB8_1153
.LBB8_1151:
	s_mov_b32 s4, -1
                                        ; implicit-def: $vgpr2_vgpr3
	s_branch .LBB8_1154
.LBB8_1152:
	s_mov_b32 s0, -1
                                        ; implicit-def: $vgpr2_vgpr3
.LBB8_1153:
	s_mov_b32 s4, 0
.LBB8_1154:
	s_and_b32 vcc_lo, exec_lo, s4
	s_cbranch_vccz .LBB8_1156
; %bb.1155:
	s_cmp_lg_u32 s5, 11
	s_mov_b32 s12, -1
	s_cselect_b32 s0, -1, 0
.LBB8_1156:
	s_and_b32 vcc_lo, exec_lo, s0
	s_mov_b32 s4, s7
	s_cbranch_vccnz .LBB8_1229
; %bb.1157:
	s_andn2_b32 vcc_lo, exec_lo, s12
	s_cbranch_vccnz .LBB8_1159
.LBB8_1158:
	global_load_ubyte v2, v[0:1], off
	s_mov_b32 s13, -1
	s_waitcnt vmcnt(0)
	v_cmp_ne_u16_e32 vcc_lo, 0, v2
	v_mov_b32_e32 v2, 0
	v_cndmask_b32_e64 v3, 0, 0x3ff00000, vcc_lo
.LBB8_1159:
	s_branch .LBB8_1088
.LBB8_1160:
	s_cmp_lt_i32 s5, 5
	s_cbranch_scc1 .LBB8_1165
; %bb.1161:
	s_cmp_lt_i32 s5, 8
	s_cbranch_scc1 .LBB8_1166
; %bb.1162:
	;; [unrolled: 3-line block ×3, first 2 shown]
	s_cmp_gt_i32 s5, 9
	s_cbranch_scc0 .LBB8_1168
; %bb.1164:
	global_load_dwordx2 v[2:3], v[0:1], off
	s_mov_b32 s0, 0
	s_branch .LBB8_1169
.LBB8_1165:
                                        ; implicit-def: $vgpr2_vgpr3
	s_branch .LBB8_1186
.LBB8_1166:
                                        ; implicit-def: $vgpr2_vgpr3
	s_branch .LBB8_1175
.LBB8_1167:
	s_mov_b32 s0, -1
                                        ; implicit-def: $vgpr2_vgpr3
	s_branch .LBB8_1172
.LBB8_1168:
	s_mov_b32 s0, -1
                                        ; implicit-def: $vgpr2_vgpr3
.LBB8_1169:
	s_andn2_b32 vcc_lo, exec_lo, s0
	s_cbranch_vccnz .LBB8_1171
; %bb.1170:
	global_load_dword v2, v[0:1], off
	s_waitcnt vmcnt(0)
	v_cvt_f64_f32_e32 v[2:3], v2
.LBB8_1171:
	s_mov_b32 s0, 0
.LBB8_1172:
	s_andn2_b32 vcc_lo, exec_lo, s0
	s_cbranch_vccnz .LBB8_1174
; %bb.1173:
	global_load_dword v2, v[0:1], off
	s_waitcnt vmcnt(0)
	v_cvt_f32_f16_e32 v2, v2
	v_cvt_f64_f32_e32 v[2:3], v2
.LBB8_1174:
	s_cbranch_execnz .LBB8_1185
.LBB8_1175:
	s_cmp_lt_i32 s5, 6
	s_cbranch_scc1 .LBB8_1178
; %bb.1176:
	s_cmp_gt_i32 s5, 6
	s_cbranch_scc0 .LBB8_1179
; %bb.1177:
	global_load_dwordx2 v[2:3], v[0:1], off
	s_mov_b32 s0, 0
	s_branch .LBB8_1180
.LBB8_1178:
	s_mov_b32 s0, -1
                                        ; implicit-def: $vgpr2_vgpr3
	s_branch .LBB8_1183
.LBB8_1179:
	s_mov_b32 s0, -1
                                        ; implicit-def: $vgpr2_vgpr3
.LBB8_1180:
	s_andn2_b32 vcc_lo, exec_lo, s0
	s_cbranch_vccnz .LBB8_1182
; %bb.1181:
	global_load_dword v2, v[0:1], off
	s_waitcnt vmcnt(0)
	v_cvt_f64_f32_e32 v[2:3], v2
.LBB8_1182:
	s_mov_b32 s0, 0
.LBB8_1183:
	s_andn2_b32 vcc_lo, exec_lo, s0
	s_cbranch_vccnz .LBB8_1185
; %bb.1184:
	global_load_ushort v2, v[0:1], off
	s_waitcnt vmcnt(0)
	v_cvt_f32_f16_e32 v2, v2
	v_cvt_f64_f32_e32 v[2:3], v2
.LBB8_1185:
	s_cbranch_execnz .LBB8_1204
.LBB8_1186:
	s_cmp_lt_i32 s5, 2
	s_cbranch_scc1 .LBB8_1190
; %bb.1187:
	s_cmp_lt_i32 s5, 3
	s_cbranch_scc1 .LBB8_1191
; %bb.1188:
	s_cmp_gt_i32 s5, 3
	s_cbranch_scc0 .LBB8_1192
; %bb.1189:
	global_load_dwordx2 v[2:3], v[0:1], off
	s_mov_b32 s0, 0
	s_waitcnt vmcnt(0)
	v_cvt_f64_i32_e32 v[3:4], v3
	v_cvt_f64_u32_e32 v[5:6], v2
	v_ldexp_f64 v[3:4], v[3:4], 32
	v_add_f64 v[2:3], v[3:4], v[5:6]
	s_branch .LBB8_1193
.LBB8_1190:
                                        ; implicit-def: $vgpr2_vgpr3
	s_branch .LBB8_1199
.LBB8_1191:
	s_mov_b32 s0, -1
                                        ; implicit-def: $vgpr2_vgpr3
	s_branch .LBB8_1196
.LBB8_1192:
	s_mov_b32 s0, -1
                                        ; implicit-def: $vgpr2_vgpr3
.LBB8_1193:
	s_andn2_b32 vcc_lo, exec_lo, s0
	s_cbranch_vccnz .LBB8_1195
; %bb.1194:
	global_load_dword v2, v[0:1], off
	s_waitcnt vmcnt(0)
	v_cvt_f64_i32_e32 v[2:3], v2
.LBB8_1195:
	s_mov_b32 s0, 0
.LBB8_1196:
	s_andn2_b32 vcc_lo, exec_lo, s0
	s_cbranch_vccnz .LBB8_1198
; %bb.1197:
	global_load_sshort v2, v[0:1], off
	s_waitcnt vmcnt(0)
	v_cvt_f64_i32_e32 v[2:3], v2
.LBB8_1198:
	s_cbranch_execnz .LBB8_1204
.LBB8_1199:
	s_cmp_gt_i32 s5, 0
	s_mov_b32 s0, 0
	s_cbranch_scc0 .LBB8_1201
; %bb.1200:
	global_load_sbyte v2, v[0:1], off
	s_waitcnt vmcnt(0)
	v_cvt_f64_i32_e32 v[2:3], v2
	s_branch .LBB8_1202
.LBB8_1201:
	s_mov_b32 s0, -1
                                        ; implicit-def: $vgpr2_vgpr3
.LBB8_1202:
	s_andn2_b32 vcc_lo, exec_lo, s0
	s_cbranch_vccnz .LBB8_1204
; %bb.1203:
	global_load_ubyte v0, v[0:1], off
	s_waitcnt vmcnt(0)
	v_cvt_f64_u32_e32 v[2:3], v0
.LBB8_1204:
.LBB8_1205:
	s_waitcnt vmcnt(0)
	v_cmp_ge_f64_e64 s0, 0x40200000, |v[2:3]|
                                        ; implicit-def: $vgpr0_vgpr1
	s_and_saveexec_b32 s12, s0
	s_xor_b32 s0, exec_lo, s12
	s_cbranch_execz .LBB8_1211
; %bb.1206:
	v_fma_f64 v[0:1], |v[2:3]|, 0.5, -2.0
	s_mov_b32 s12, 0xc38a0576
	s_mov_b32 s13, 0xbc7857d0
	;; [unrolled: 1-line block ×4, first 2 shown]
	v_fma_f64 v[4:5], v[0:1], s[14:15], s[12:13]
	s_mov_b32 s15, 0xbc499f2a
	s_mov_b32 s12, 0xe593bfac
	;; [unrolled: 1-line block ×3, first 2 shown]
	v_fma_f64 v[6:7], v[0:1], v[4:5], s[14:15]
	s_mov_b32 s14, 0x3b39803f
	s_mov_b32 s15, 0xbc7abc9e
	v_add_f64 v[6:7], v[6:7], s[12:13]
	s_mov_b32 s12, 0x7e0d1573
	s_mov_b32 s13, 0xbcd3eaaa
	v_fma_f64 v[4:5], v[0:1], v[6:7], -v[4:5]
	v_add_f64 v[4:5], v[4:5], s[12:13]
	s_mov_b32 s12, 0x615290c
	s_mov_b32 s13, 0x3d011d7f
	v_fma_f64 v[6:7], v[0:1], v[4:5], -v[6:7]
	;; [unrolled: 4-line block ×20, first 2 shown]
	v_add_f64 v[6:7], v[6:7], s[12:13]
	s_mov_b32 s12, 0x652b82fe
	s_mov_b32 s13, 0x3ff71547
	v_mul_f64 v[9:10], |v[2:3]|, s[12:13]
	s_mov_b32 s12, 0x7913a26a
	s_mov_b32 s13, 0xbf85a29f
	v_fma_f64 v[4:5], v[0:1], v[6:7], -v[4:5]
	v_rndne_f64_e32 v[9:10], v[9:10]
	v_add_f64 v[4:5], v[4:5], s[12:13]
	s_mov_b32 s12, 0xfefa39ef
	s_mov_b32 s13, 0xbfe62e42
	v_fma_f64 v[11:12], v[9:10], s[12:13], |v[2:3]|
	s_mov_b32 s12, 0xe7bb2349
	s_mov_b32 s13, 0x3f9951e3
	v_fma_f64 v[6:7], v[0:1], v[4:5], -v[6:7]
	v_fma_f64 v[11:12], v[9:10], s[14:15], v[11:12]
	s_mov_b32 s14, 0x6a5dcb37
	s_mov_b32 s15, 0x3e5ade15
	v_cvt_i32_f64_e32 v9, v[9:10]
	v_add_f64 v[6:7], v[6:7], s[12:13]
	s_mov_b32 s12, 0xfca7ab0c
	s_mov_b32 s13, 0x3e928af3
	v_fma_f64 v[15:16], v[11:12], s[14:15], s[12:13]
	s_mov_b32 s12, 0x537c9ebc
	s_mov_b32 s14, 0x623fde64
	;; [unrolled: 1-line block ×4, first 2 shown]
	v_fma_f64 v[4:5], v[0:1], v[6:7], -v[4:5]
	v_fma_f64 v[15:16], v[11:12], v[15:16], s[14:15]
	s_mov_b32 s14, 0x14761f6e
	s_mov_b32 s15, 0x3f2a01a0
	v_add_f64 v[4:5], v[4:5], s[12:13]
	s_mov_b32 s12, 0x7c89e6b0
	s_mov_b32 s13, 0x3efa0199
	v_fma_f64 v[15:16], v[11:12], v[15:16], s[12:13]
	s_mov_b32 s12, 0xd536f53c
	s_mov_b32 s13, 0x3fba46da
	v_fma_f64 v[6:7], v[0:1], v[4:5], -v[6:7]
	v_fma_f64 v[15:16], v[11:12], v[15:16], s[14:15]
	s_mov_b32 s14, 0x11122322
	s_mov_b32 s15, 0x3f811111
	v_add_f64 v[6:7], v[6:7], s[12:13]
	s_mov_b32 s12, 0x1852b7b0
	s_mov_b32 s13, 0x3f56c16c
	v_fma_f64 v[15:16], v[11:12], v[15:16], s[12:13]
	s_mov_b32 s12, 0x469192e
	s_mov_b32 s13, 0xbfc694d1
	;; [unrolled: 10-line block ×3, first 2 shown]
	v_fma_f64 v[0:1], v[0:1], v[4:5], -v[6:7]
	v_fma_f64 v[4:5], v[11:12], v[15:16], s[14:15]
	v_add_f64 v[0:1], v[0:1], s[12:13]
	s_mov_b32 s12, 11
	s_mov_b32 s13, 0x3fe00000
	v_fma_f64 v[4:5], v[11:12], v[4:5], s[12:13]
	s_mov_b32 s12, exec_lo
	v_add_f64 v[0:1], v[0:1], -v[6:7]
	v_fma_f64 v[4:5], v[11:12], v[4:5], 1.0
	v_mul_f64 v[0:1], v[0:1], 0.5
	v_fma_f64 v[6:7], v[11:12], v[4:5], 1.0
	v_mul_f64 v[4:5], |v[2:3]|, v[0:1]
                                        ; implicit-def: $vgpr0_vgpr1
	v_cmpx_ngt_f64_e32 0, v[2:3]
	s_xor_b32 s12, exec_lo, s12
	s_cbranch_execz .LBB8_1208
; %bb.1207:
	v_ldexp_f64 v[0:1], v[6:7], v9
	v_cmp_nlt_f64_e64 vcc_lo, 0x40900000, |v[2:3]|
                                        ; implicit-def: $vgpr6_vgpr7
                                        ; implicit-def: $vgpr9
                                        ; implicit-def: $vgpr2_vgpr3
	v_cndmask_b32_e32 v1, 0x7ff00000, v1, vcc_lo
	v_cndmask_b32_e32 v0, 0, v0, vcc_lo
	v_mul_f64 v[0:1], v[0:1], v[4:5]
                                        ; implicit-def: $vgpr4_vgpr5
.LBB8_1208:
	s_andn2_saveexec_b32 s12, s12
	s_cbranch_execz .LBB8_1210
; %bb.1209:
	v_ldexp_f64 v[0:1], -v[6:7], v9
	v_cmp_nlt_f64_e64 vcc_lo, 0x40900000, |v[2:3]|
	v_cndmask_b32_e32 v1, 0xfff00000, v1, vcc_lo
	v_cndmask_b32_e32 v0, 0, v0, vcc_lo
	v_mul_f64 v[0:1], v[0:1], v[4:5]
.LBB8_1210:
	s_or_b32 exec_lo, exec_lo, s12
                                        ; implicit-def: $vgpr2_vgpr3
.LBB8_1211:
	s_andn2_saveexec_b32 s12, s0
	s_cbranch_execz .LBB8_1217
; %bb.1212:
	v_and_b32_e32 v1, 0x7fffffff, v3
	v_mov_b32_e32 v0, v2
	s_mov_b32 s14, 0xea87b950
	s_mov_b32 s15, 0x3c545b8a
	;; [unrolled: 1-line block ×4, first 2 shown]
	v_div_scale_f64 v[4:5], null, v[0:1], v[0:1], 0x40400000
	v_div_scale_f64 v[0:1], vcc_lo, 0x40400000, v[0:1], 0x40400000
	v_cmp_ngt_f64_e64 s0, 0, v[2:3]
	v_rcp_f64_e32 v[6:7], v[4:5]
	v_fma_f64 v[9:10], -v[4:5], v[6:7], 1.0
	v_fma_f64 v[6:7], v[6:7], v[9:10], v[6:7]
	v_fma_f64 v[9:10], -v[4:5], v[6:7], 1.0
	v_fma_f64 v[6:7], v[6:7], v[9:10], v[6:7]
	v_mul_f64 v[9:10], v[0:1], v[6:7]
	v_fma_f64 v[0:1], -v[4:5], v[9:10], v[0:1]
	v_div_fmas_f64 v[0:1], v[0:1], v[6:7], v[9:10]
	v_cmp_nlt_f64_e64 vcc_lo, 0x40900000, |v[2:3]|
	v_div_fixup_f64 v[0:1], v[0:1], |v[2:3]|, 0x40400000
	v_add_f64 v[0:1], v[0:1], -2.0
	v_fma_f64 v[4:5], v[0:1], s[16:17], s[14:15]
	s_mov_b32 s17, 0xbc61556d
	s_mov_b32 s14, 0xb2532277
	;; [unrolled: 1-line block ×3, first 2 shown]
	v_fma_f64 v[6:7], v[0:1], v[4:5], s[16:17]
	s_mov_b32 s16, 0x6a5dcb37
	s_mov_b32 s17, 0x3e5ade15
	v_add_f64 v[6:7], v[6:7], s[14:15]
	s_mov_b32 s14, 0x9c773320
	s_mov_b32 s15, 0xbc82806c
	v_fma_f64 v[4:5], v[0:1], v[6:7], -v[4:5]
	v_add_f64 v[4:5], v[4:5], s[14:15]
	s_mov_b32 s14, 0xfceb588a
	s_mov_b32 s15, 0x3cb55915
	v_fma_f64 v[6:7], v[0:1], v[4:5], -v[6:7]
	;; [unrolled: 4-line block ×14, first 2 shown]
	v_add_f64 v[6:7], v[6:7], s[14:15]
	s_mov_b32 s14, 0x652b82fe
	s_mov_b32 s15, 0x3ff71547
	v_mul_f64 v[9:10], |v[2:3]|, s[14:15]
	s_mov_b32 s14, 0x5423dd80
	s_mov_b32 s15, 0xbe0334ca
	v_fma_f64 v[4:5], v[0:1], v[6:7], -v[4:5]
	v_rndne_f64_e32 v[9:10], v[9:10]
	v_add_f64 v[4:5], v[4:5], s[14:15]
	s_mov_b32 s14, 0xfefa39ef
	s_mov_b32 s15, 0xbfe62e42
	v_fma_f64 v[11:12], v[9:10], s[14:15], |v[2:3]|
	s_mov_b32 s14, 0x9ad53528
	s_mov_b32 s15, 0xbe30790b
	v_fma_f64 v[6:7], v[0:1], v[4:5], -v[6:7]
	v_add_f64 v[6:7], v[6:7], s[14:15]
	s_mov_b32 s14, 0x3b39803f
	s_mov_b32 s15, 0xbc7abc9e
	v_fma_f64 v[11:12], v[9:10], s[14:15], v[11:12]
	s_mov_b32 s14, 0xfca7ab0c
	s_mov_b32 s15, 0x3e928af3
	v_cvt_i32_f64_e32 v9, v[9:10]
	v_fma_f64 v[4:5], v[0:1], v[6:7], -v[4:5]
	v_fma_f64 v[15:16], v[11:12], s[16:17], s[14:15]
	s_mov_b32 s14, 0x94bb46c1
	s_mov_b32 s15, 0xbe5c4153
	v_add_f64 v[4:5], v[4:5], s[14:15]
	s_mov_b32 s14, 0x623fde64
	s_mov_b32 s15, 0x3ec71dee
	v_fma_f64 v[15:16], v[11:12], v[15:16], s[14:15]
	s_mov_b32 s14, 0x7c89e6b0
	s_mov_b32 s15, 0x3efa0199
	v_fma_f64 v[6:7], v[0:1], v[4:5], -v[6:7]
	v_fma_f64 v[15:16], v[11:12], v[15:16], s[14:15]
	s_mov_b32 s14, 0x2e9e5443
	s_mov_b32 s15, 0xbe90dbfd
	v_add_f64 v[6:7], v[6:7], s[14:15]
	s_mov_b32 s14, 0x14761f6e
	s_mov_b32 s15, 0x3f2a01a0
	v_fma_f64 v[15:16], v[11:12], v[15:16], s[14:15]
	s_mov_b32 s14, 0x1852b7b0
	s_mov_b32 s15, 0x3f56c16c
	;; [unrolled: 10-line block ×4, first 2 shown]
	v_fma_f64 v[4:5], v[0:1], v[6:7], -v[4:5]
	v_fma_f64 v[15:16], v[11:12], v[15:16], s[14:15]
	s_mov_b32 s14, 0x53fcdb4c
	s_mov_b32 s15, 0xbf83fda0
	v_add_f64 v[4:5], v[4:5], s[14:15]
	s_mov_b32 s14, 0xb55b1514
	s_mov_b32 s15, 0x3fe8ea18
	v_fma_f64 v[15:16], v[11:12], v[15:16], 1.0
	v_fma_f64 v[0:1], v[0:1], v[4:5], -v[6:7]
	v_fma_f64 v[4:5], v[11:12], v[15:16], 1.0
	v_add_f64 v[0:1], v[0:1], s[14:15]
	v_ldexp_f64 v[4:5], v[4:5], v9
	v_add_f64 v[6:7], v[0:1], -v[6:7]
                                        ; implicit-def: $vgpr0_vgpr1
	v_cndmask_b32_e32 v5, 0x7ff00000, v5, vcc_lo
	v_cndmask_b32_e32 v4, 0, v4, vcc_lo
	s_and_saveexec_b32 s13, s0
	s_xor_b32 s0, exec_lo, s13
	s_cbranch_execz .LBB8_1214
; %bb.1213:
	v_cmp_gt_f64_e64 s13, 0x10000000, |v[2:3]|
	v_mul_f64 v[6:7], v[6:7], 0.5
	v_cndmask_b32_e64 v0, 0, 0x100, s13
	v_mul_f64 v[4:5], v[4:5], v[6:7]
	v_ldexp_f64 v[0:1], |v[2:3]|, v0
	v_rsq_f64_e32 v[2:3], v[0:1]
	v_cmp_class_f64_e64 vcc_lo, v[0:1], 0x260
	v_mul_f64 v[9:10], v[0:1], v[2:3]
	v_mul_f64 v[2:3], v[2:3], 0.5
	v_fma_f64 v[11:12], -v[2:3], v[9:10], 0.5
	v_fma_f64 v[9:10], v[9:10], v[11:12], v[9:10]
	v_fma_f64 v[2:3], v[2:3], v[11:12], v[2:3]
	v_fma_f64 v[11:12], -v[9:10], v[9:10], v[0:1]
	v_fma_f64 v[9:10], v[11:12], v[2:3], v[9:10]
	v_fma_f64 v[11:12], -v[9:10], v[9:10], v[0:1]
	v_fma_f64 v[2:3], v[11:12], v[2:3], v[9:10]
	v_cndmask_b32_e64 v9, 0, 0xffffff80, s13
	v_ldexp_f64 v[2:3], v[2:3], v9
	v_cndmask_b32_e32 v1, v3, v1, vcc_lo
	v_cndmask_b32_e32 v0, v2, v0, vcc_lo
	v_div_scale_f64 v[2:3], null, v[0:1], v[0:1], v[4:5]
	v_rcp_f64_e32 v[6:7], v[2:3]
	v_fma_f64 v[9:10], -v[2:3], v[6:7], 1.0
	v_fma_f64 v[6:7], v[6:7], v[9:10], v[6:7]
	v_fma_f64 v[9:10], -v[2:3], v[6:7], 1.0
	v_fma_f64 v[6:7], v[6:7], v[9:10], v[6:7]
	v_div_scale_f64 v[9:10], vcc_lo, v[4:5], v[0:1], v[4:5]
	v_mul_f64 v[11:12], v[9:10], v[6:7]
	v_fma_f64 v[2:3], -v[2:3], v[11:12], v[9:10]
	v_div_fmas_f64 v[2:3], v[2:3], v[6:7], v[11:12]
                                        ; implicit-def: $vgpr6_vgpr7
	v_div_fixup_f64 v[0:1], v[2:3], v[0:1], v[4:5]
                                        ; implicit-def: $vgpr2_vgpr3
                                        ; implicit-def: $vgpr4_vgpr5
.LBB8_1214:
	s_andn2_saveexec_b32 s0, s0
	s_cbranch_execz .LBB8_1216
; %bb.1215:
	v_cmp_gt_f64_e64 s13, 0x10000000, |v[2:3]|
	v_mul_f64 v[6:7], v[6:7], -0.5
	v_cndmask_b32_e64 v0, 0, 0x100, s13
	v_mul_f64 v[4:5], v[4:5], v[6:7]
	v_ldexp_f64 v[0:1], |v[2:3]|, v0
	v_rsq_f64_e32 v[2:3], v[0:1]
	v_cmp_class_f64_e64 vcc_lo, v[0:1], 0x260
	v_mul_f64 v[9:10], v[0:1], v[2:3]
	v_mul_f64 v[2:3], v[2:3], 0.5
	v_fma_f64 v[11:12], -v[2:3], v[9:10], 0.5
	v_fma_f64 v[9:10], v[9:10], v[11:12], v[9:10]
	v_fma_f64 v[2:3], v[2:3], v[11:12], v[2:3]
	v_fma_f64 v[11:12], -v[9:10], v[9:10], v[0:1]
	v_fma_f64 v[9:10], v[11:12], v[2:3], v[9:10]
	v_fma_f64 v[11:12], -v[9:10], v[9:10], v[0:1]
	v_fma_f64 v[2:3], v[11:12], v[2:3], v[9:10]
	v_cndmask_b32_e64 v9, 0, 0xffffff80, s13
	v_ldexp_f64 v[2:3], v[2:3], v9
	v_cndmask_b32_e32 v1, v3, v1, vcc_lo
	v_cndmask_b32_e32 v0, v2, v0, vcc_lo
	v_div_scale_f64 v[2:3], null, v[0:1], v[0:1], v[4:5]
	v_rcp_f64_e32 v[6:7], v[2:3]
	v_fma_f64 v[9:10], -v[2:3], v[6:7], 1.0
	v_fma_f64 v[6:7], v[6:7], v[9:10], v[6:7]
	v_fma_f64 v[9:10], -v[2:3], v[6:7], 1.0
	v_fma_f64 v[6:7], v[6:7], v[9:10], v[6:7]
	v_div_scale_f64 v[9:10], vcc_lo, v[4:5], v[0:1], v[4:5]
	v_mul_f64 v[11:12], v[9:10], v[6:7]
	v_fma_f64 v[2:3], -v[2:3], v[11:12], v[9:10]
	v_div_fmas_f64 v[2:3], v[2:3], v[6:7], v[11:12]
	v_div_fixup_f64 v[0:1], v[2:3], v[0:1], v[4:5]
.LBB8_1216:
	s_or_b32 exec_lo, exec_lo, s0
.LBB8_1217:
	s_or_b32 exec_lo, exec_lo, s12
	s_lshl_b32 s3, s3, 7
	s_cmp_lt_i32 s5, 11
	v_add_nc_u32_e32 v10, s3, v8
	v_ashrrev_i32_e32 v2, 31, v10
	v_add_co_u32 v4, vcc_lo, s10, v10
	v_add_co_ci_u32_e64 v5, null, s11, v2, vcc_lo
	s_cbranch_scc1 .LBB8_1224
; %bb.1218:
	s_cmp_gt_i32 s5, 25
	s_mov_b32 s12, 0
	s_cbranch_scc0 .LBB8_1226
; %bb.1219:
	s_cmp_gt_i32 s5, 28
	s_cbranch_scc0 .LBB8_1227
; %bb.1220:
	s_cmp_gt_i32 s5, 43
	;; [unrolled: 3-line block ×3, first 2 shown]
	s_cbranch_scc0 .LBB8_1230
; %bb.1222:
	s_cmp_eq_u32 s5, 46
	s_mov_b32 s14, 0
	s_cbranch_scc0 .LBB8_1233
; %bb.1223:
	global_load_dword v2, v[4:5], off
	s_mov_b32 s0, 0
	s_mov_b32 s13, -1
	s_waitcnt vmcnt(0)
	v_lshlrev_b32_e32 v2, 16, v2
	v_cvt_f64_f32_e32 v[2:3], v2
	s_branch .LBB8_1235
.LBB8_1224:
	s_mov_b32 s13, 0
                                        ; implicit-def: $vgpr2_vgpr3
	s_cbranch_execnz .LBB8_1300
.LBB8_1225:
	s_andn2_b32 vcc_lo, exec_lo, s13
	s_cbranch_vccnz .LBB8_1722
	s_branch .LBB8_1347
.LBB8_1226:
	s_mov_b32 s13, 0
	s_mov_b32 s0, 0
                                        ; implicit-def: $vgpr2_vgpr3
	s_cbranch_execnz .LBB8_1266
	s_branch .LBB8_1296
.LBB8_1227:
	s_mov_b32 s14, -1
	s_mov_b32 s13, 0
	s_mov_b32 s0, 0
                                        ; implicit-def: $vgpr2_vgpr3
	s_branch .LBB8_1245
.LBB8_1228:
	s_mov_b32 s14, -1
	s_mov_b32 s13, 0
	s_mov_b32 s0, 0
                                        ; implicit-def: $vgpr2_vgpr3
	s_branch .LBB8_1240
.LBB8_1229:
	s_or_b32 s4, s7, exec_lo
	s_trap 2
	s_cbranch_execz .LBB8_1158
	s_branch .LBB8_1159
.LBB8_1230:
	s_mov_b32 s14, -1
	s_mov_b32 s13, 0
	s_mov_b32 s0, 0
	s_branch .LBB8_1234
.LBB8_1231:
	s_andn2_saveexec_b32 s19, s19
	s_cbranch_execz .LBB8_1004
.LBB8_1232:
	v_add_f32_e64 v3, 0x42800000, |v2|
	s_andn2_b32 s18, s18, exec_lo
	v_and_b32_e32 v3, 0xff, v3
	v_cmp_ne_u32_e32 vcc_lo, 0, v3
	s_and_b32 s20, vcc_lo, exec_lo
	s_or_b32 s18, s18, s20
	s_or_b32 exec_lo, exec_lo, s19
	v_mov_b32_e32 v6, 0
	s_and_saveexec_b32 s19, s18
	s_cbranch_execnz .LBB8_1005
	s_branch .LBB8_1006
.LBB8_1233:
	s_mov_b32 s0, -1
	s_mov_b32 s13, 0
.LBB8_1234:
                                        ; implicit-def: $vgpr2_vgpr3
.LBB8_1235:
	s_and_b32 vcc_lo, exec_lo, s14
	s_cbranch_vccz .LBB8_1239
; %bb.1236:
	s_cmp_eq_u32 s5, 44
	s_cbranch_scc0 .LBB8_1238
; %bb.1237:
	global_load_ubyte v6, v[4:5], off
	s_mov_b32 s0, 0
	s_mov_b32 s13, -1
	s_waitcnt vmcnt(0)
	v_lshlrev_b32_e32 v2, 23, v6
	v_cmp_ne_u32_e32 vcc_lo, 0xff, v6
	v_cvt_f64_f32_e32 v[2:3], v2
	v_cndmask_b32_e32 v2, 0x20000000, v2, vcc_lo
	v_cndmask_b32_e32 v3, 0x7ff80000, v3, vcc_lo
	v_cmp_ne_u32_e32 vcc_lo, 0, v6
	v_cndmask_b32_e32 v3, 0x38000000, v3, vcc_lo
	v_cndmask_b32_e32 v2, 0, v2, vcc_lo
	s_branch .LBB8_1239
.LBB8_1238:
	s_mov_b32 s0, -1
                                        ; implicit-def: $vgpr2_vgpr3
.LBB8_1239:
	s_mov_b32 s14, 0
.LBB8_1240:
	s_and_b32 vcc_lo, exec_lo, s14
	s_cbranch_vccz .LBB8_1244
; %bb.1241:
	s_cmp_eq_u32 s5, 29
	s_cbranch_scc0 .LBB8_1243
; %bb.1242:
	global_load_dwordx2 v[2:3], v[4:5], off
	s_mov_b32 s0, 0
	s_mov_b32 s13, -1
	s_mov_b32 s14, 0
	s_waitcnt vmcnt(0)
	v_cvt_f64_u32_e32 v[6:7], v3
	v_cvt_f64_u32_e32 v[2:3], v2
	v_ldexp_f64 v[6:7], v[6:7], 32
	v_add_f64 v[2:3], v[6:7], v[2:3]
	s_branch .LBB8_1245
.LBB8_1243:
	s_mov_b32 s0, -1
                                        ; implicit-def: $vgpr2_vgpr3
.LBB8_1244:
	s_mov_b32 s14, 0
.LBB8_1245:
	s_and_b32 vcc_lo, exec_lo, s14
	s_cbranch_vccz .LBB8_1265
; %bb.1246:
	s_cmp_lt_i32 s5, 27
	s_cbranch_scc1 .LBB8_1249
; %bb.1247:
	s_cmp_gt_i32 s5, 27
	s_cbranch_scc0 .LBB8_1250
; %bb.1248:
	global_load_dword v2, v[4:5], off
	s_mov_b32 s13, 0
	s_waitcnt vmcnt(0)
	v_cvt_f64_u32_e32 v[2:3], v2
	s_branch .LBB8_1251
.LBB8_1249:
	s_mov_b32 s13, -1
                                        ; implicit-def: $vgpr2_vgpr3
	s_branch .LBB8_1254
.LBB8_1250:
	s_mov_b32 s13, -1
                                        ; implicit-def: $vgpr2_vgpr3
.LBB8_1251:
	s_andn2_b32 vcc_lo, exec_lo, s13
	s_cbranch_vccnz .LBB8_1253
; %bb.1252:
	global_load_ushort v2, v[4:5], off
	s_waitcnt vmcnt(0)
	v_cvt_f64_u32_e32 v[2:3], v2
.LBB8_1253:
	s_mov_b32 s13, 0
.LBB8_1254:
	s_andn2_b32 vcc_lo, exec_lo, s13
	s_cbranch_vccnz .LBB8_1264
; %bb.1255:
	global_load_ubyte v6, v[4:5], off
	s_mov_b32 s13, 0
	s_mov_b32 s14, exec_lo
	s_waitcnt vmcnt(0)
	v_cmpx_lt_i16_e32 0x7f, v6
	s_xor_b32 s14, exec_lo, s14
	s_cbranch_execz .LBB8_1259
; %bb.1256:
	s_mov_b32 s13, -1
	s_mov_b32 s15, exec_lo
	v_cmpx_eq_u16_e32 0x80, v6
; %bb.1257:
	s_xor_b32 s13, exec_lo, -1
; %bb.1258:
	s_or_b32 exec_lo, exec_lo, s15
	s_and_b32 s13, s13, exec_lo
.LBB8_1259:
	s_or_saveexec_b32 s14, s14
	v_bfrev_b32_e32 v2, 4
	v_mov_b32_e32 v3, 0x7ff80000
	s_xor_b32 exec_lo, exec_lo, s14
; %bb.1260:
	v_cmp_ne_u16_e32 vcc_lo, 0, v6
	v_mov_b32_e32 v2, 0
	v_mov_b32_e32 v3, 0
	s_andn2_b32 s13, s13, exec_lo
	s_and_b32 s15, vcc_lo, exec_lo
	s_or_b32 s13, s13, s15
; %bb.1261:
	s_or_b32 exec_lo, exec_lo, s14
	s_and_saveexec_b32 s14, s13
	s_cbranch_execz .LBB8_1263
; %bb.1262:
	v_and_b32_e32 v2, 0xffff, v6
	v_lshlrev_b32_e32 v6, 24, v6
	v_and_b32_e32 v3, 7, v2
	v_bfe_u32 v9, v2, 3, 4
	v_ffbh_u32_e32 v7, v3
	v_cmp_eq_u32_e32 vcc_lo, 0, v9
	v_min_u32_e32 v7, 32, v7
	v_subrev_nc_u32_e32 v8, 28, v7
	v_sub_nc_u32_e32 v7, 29, v7
	v_lshlrev_b32_e32 v2, v8, v2
	v_cndmask_b32_e32 v7, v9, v7, vcc_lo
	v_and_b32_e32 v2, 7, v2
	v_cndmask_b32_e32 v2, v3, v2, vcc_lo
	v_and_b32_e32 v3, 0x80000000, v6
	v_lshl_add_u32 v6, v7, 23, 0x3b800000
	v_lshlrev_b32_e32 v2, 20, v2
	v_or3_b32 v2, v3, v6, v2
	v_cvt_f64_f32_e32 v[2:3], v2
.LBB8_1263:
	s_or_b32 exec_lo, exec_lo, s14
.LBB8_1264:
	s_mov_b32 s13, -1
.LBB8_1265:
	s_branch .LBB8_1296
.LBB8_1266:
	s_cmp_gt_i32 s5, 22
	s_cbranch_scc0 .LBB8_1278
; %bb.1267:
	s_cmp_lt_i32 s5, 24
	s_cbranch_scc1 .LBB8_1279
; %bb.1268:
	s_cmp_gt_i32 s5, 24
	s_cbranch_scc0 .LBB8_1280
; %bb.1269:
	global_load_ubyte v6, v[4:5], off
	s_mov_b32 s13, exec_lo
	s_waitcnt vmcnt(0)
	v_cmpx_lt_i16_e32 0x7f, v6
	s_xor_b32 s13, exec_lo, s13
	s_cbranch_execz .LBB8_1273
; %bb.1270:
	s_mov_b32 s12, -1
	s_mov_b32 s14, exec_lo
	v_cmpx_eq_u16_e32 0x80, v6
; %bb.1271:
	s_xor_b32 s12, exec_lo, -1
; %bb.1272:
	s_or_b32 exec_lo, exec_lo, s14
	s_and_b32 s12, s12, exec_lo
.LBB8_1273:
	s_or_saveexec_b32 s13, s13
	v_bfrev_b32_e32 v2, 4
	v_mov_b32_e32 v3, 0x7ff80000
	s_xor_b32 exec_lo, exec_lo, s13
; %bb.1274:
	v_cmp_ne_u16_e32 vcc_lo, 0, v6
	v_mov_b32_e32 v2, 0
	v_mov_b32_e32 v3, 0
	s_andn2_b32 s12, s12, exec_lo
	s_and_b32 s14, vcc_lo, exec_lo
	s_or_b32 s12, s12, s14
; %bb.1275:
	s_or_b32 exec_lo, exec_lo, s13
	s_and_saveexec_b32 s13, s12
	s_cbranch_execz .LBB8_1277
; %bb.1276:
	v_and_b32_e32 v2, 0xffff, v6
	v_lshlrev_b32_e32 v6, 24, v6
	v_and_b32_e32 v3, 3, v2
	v_bfe_u32 v9, v2, 2, 5
	v_ffbh_u32_e32 v7, v3
	v_cmp_eq_u32_e32 vcc_lo, 0, v9
	v_min_u32_e32 v7, 32, v7
	v_subrev_nc_u32_e32 v8, 29, v7
	v_sub_nc_u32_e32 v7, 30, v7
	v_lshlrev_b32_e32 v2, v8, v2
	v_cndmask_b32_e32 v7, v9, v7, vcc_lo
	v_and_b32_e32 v2, 3, v2
	v_cndmask_b32_e32 v2, v3, v2, vcc_lo
	v_and_b32_e32 v3, 0x80000000, v6
	v_lshl_add_u32 v6, v7, 23, 0x37800000
	v_lshlrev_b32_e32 v2, 21, v2
	v_or3_b32 v2, v3, v6, v2
	v_cvt_f64_f32_e32 v[2:3], v2
.LBB8_1277:
	s_or_b32 exec_lo, exec_lo, s13
	s_mov_b32 s12, 0
	s_branch .LBB8_1281
.LBB8_1278:
	s_mov_b32 s12, -1
                                        ; implicit-def: $vgpr2_vgpr3
	s_branch .LBB8_1287
.LBB8_1279:
	s_mov_b32 s12, -1
                                        ; implicit-def: $vgpr2_vgpr3
	s_branch .LBB8_1284
.LBB8_1280:
	s_mov_b32 s12, -1
                                        ; implicit-def: $vgpr2_vgpr3
.LBB8_1281:
	s_and_b32 vcc_lo, exec_lo, s12
	s_cbranch_vccz .LBB8_1283
; %bb.1282:
	global_load_ubyte v2, v[4:5], off
	s_waitcnt vmcnt(0)
	v_lshlrev_b32_e32 v2, 24, v2
	v_and_b32_e32 v3, 0x7f000000, v2
	v_ffbh_u32_e32 v6, v3
	v_add_nc_u32_e32 v8, 0x1000000, v3
	v_cmp_ne_u32_e32 vcc_lo, 0, v3
	v_min_u32_e32 v6, 32, v6
	v_sub_nc_u32_e64 v6, v6, 4 clamp
	v_lshlrev_b32_e32 v7, v6, v3
	v_lshlrev_b32_e32 v6, 23, v6
	v_lshrrev_b32_e32 v7, 4, v7
	v_sub_nc_u32_e32 v6, v7, v6
	v_ashrrev_i32_e32 v7, 8, v8
	v_add_nc_u32_e32 v6, 0x3c000000, v6
	v_and_or_b32 v6, 0x7f800000, v7, v6
	v_cndmask_b32_e32 v3, 0, v6, vcc_lo
	v_and_or_b32 v2, 0x80000000, v2, v3
	v_cvt_f64_f32_e32 v[2:3], v2
.LBB8_1283:
	s_mov_b32 s12, 0
.LBB8_1284:
	s_andn2_b32 vcc_lo, exec_lo, s12
	s_cbranch_vccnz .LBB8_1286
; %bb.1285:
	global_load_ubyte v2, v[4:5], off
	s_waitcnt vmcnt(0)
	v_lshlrev_b32_e32 v3, 25, v2
	v_lshlrev_b16 v2, 8, v2
	v_lshrrev_b32_e32 v6, 4, v3
	v_and_or_b32 v7, 0x7f00, v2, 0.5
	v_cmp_gt_u32_e32 vcc_lo, 0x8000000, v3
	v_bfe_i32 v2, v2, 0, 16
	v_or_b32_e32 v6, 0x70000000, v6
	v_add_f32_e32 v7, -0.5, v7
	v_mul_f32_e32 v6, 0x7800000, v6
	v_cndmask_b32_e32 v3, v6, v7, vcc_lo
	v_and_or_b32 v2, 0x80000000, v2, v3
	v_cvt_f64_f32_e32 v[2:3], v2
.LBB8_1286:
	s_mov_b32 s12, 0
	s_mov_b32 s13, -1
.LBB8_1287:
	s_andn2_b32 vcc_lo, exec_lo, s12
	s_mov_b32 s12, 0
	s_cbranch_vccnz .LBB8_1296
; %bb.1288:
	s_cmp_gt_i32 s5, 14
	s_cbranch_scc0 .LBB8_1291
; %bb.1289:
	s_cmp_eq_u32 s5, 15
	s_cbranch_scc0 .LBB8_1292
; %bb.1290:
	global_load_ushort v2, v[4:5], off
	s_mov_b32 s0, 0
	s_mov_b32 s13, -1
	s_waitcnt vmcnt(0)
	v_lshlrev_b32_e32 v2, 16, v2
	v_cvt_f64_f32_e32 v[2:3], v2
	s_branch .LBB8_1294
.LBB8_1291:
	s_mov_b32 s12, -1
	s_branch .LBB8_1293
.LBB8_1292:
	s_mov_b32 s0, -1
.LBB8_1293:
                                        ; implicit-def: $vgpr2_vgpr3
.LBB8_1294:
	s_and_b32 vcc_lo, exec_lo, s12
	s_mov_b32 s12, 0
	s_cbranch_vccz .LBB8_1296
; %bb.1295:
	s_cmp_lg_u32 s5, 11
	s_mov_b32 s12, -1
	s_cselect_b32 s0, -1, 0
.LBB8_1296:
	s_and_b32 vcc_lo, exec_lo, s0
	s_cbranch_vccnz .LBB8_1371
; %bb.1297:
	s_andn2_b32 vcc_lo, exec_lo, s12
	s_cbranch_vccnz .LBB8_1299
.LBB8_1298:
	global_load_ubyte v2, v[4:5], off
	s_mov_b32 s13, -1
	s_waitcnt vmcnt(0)
	v_cmp_ne_u16_e32 vcc_lo, 0, v2
	v_mov_b32_e32 v2, 0
	v_cndmask_b32_e64 v3, 0, 0x3ff00000, vcc_lo
.LBB8_1299:
	s_branch .LBB8_1225
.LBB8_1300:
	s_cmp_lt_i32 s5, 5
	s_cbranch_scc1 .LBB8_1305
; %bb.1301:
	s_cmp_lt_i32 s5, 8
	s_cbranch_scc1 .LBB8_1306
; %bb.1302:
	;; [unrolled: 3-line block ×3, first 2 shown]
	s_cmp_gt_i32 s5, 9
	s_cbranch_scc0 .LBB8_1308
; %bb.1304:
	global_load_dwordx2 v[2:3], v[4:5], off
	s_mov_b32 s0, 0
	s_branch .LBB8_1309
.LBB8_1305:
                                        ; implicit-def: $vgpr2_vgpr3
	s_branch .LBB8_1327
.LBB8_1306:
	s_mov_b32 s0, -1
                                        ; implicit-def: $vgpr2_vgpr3
	s_branch .LBB8_1315
.LBB8_1307:
	s_mov_b32 s0, -1
                                        ; implicit-def: $vgpr2_vgpr3
	s_branch .LBB8_1312
.LBB8_1308:
	s_mov_b32 s0, -1
                                        ; implicit-def: $vgpr2_vgpr3
.LBB8_1309:
	s_andn2_b32 vcc_lo, exec_lo, s0
	s_cbranch_vccnz .LBB8_1311
; %bb.1310:
	global_load_dword v2, v[4:5], off
	s_waitcnt vmcnt(0)
	v_cvt_f64_f32_e32 v[2:3], v2
.LBB8_1311:
	s_mov_b32 s0, 0
.LBB8_1312:
	s_andn2_b32 vcc_lo, exec_lo, s0
	s_cbranch_vccnz .LBB8_1314
; %bb.1313:
	global_load_dword v2, v[4:5], off
	s_waitcnt vmcnt(0)
	v_cvt_f32_f16_e32 v2, v2
	v_cvt_f64_f32_e32 v[2:3], v2
.LBB8_1314:
	s_mov_b32 s0, 0
.LBB8_1315:
	s_andn2_b32 vcc_lo, exec_lo, s0
	s_cbranch_vccnz .LBB8_1326
; %bb.1316:
	s_cmp_lt_i32 s5, 6
	s_cbranch_scc1 .LBB8_1319
; %bb.1317:
	s_cmp_gt_i32 s5, 6
	s_cbranch_scc0 .LBB8_1320
; %bb.1318:
	global_load_dwordx2 v[2:3], v[4:5], off
	s_mov_b32 s0, 0
	s_branch .LBB8_1321
.LBB8_1319:
	s_mov_b32 s0, -1
                                        ; implicit-def: $vgpr2_vgpr3
	s_branch .LBB8_1324
.LBB8_1320:
	s_mov_b32 s0, -1
                                        ; implicit-def: $vgpr2_vgpr3
.LBB8_1321:
	s_andn2_b32 vcc_lo, exec_lo, s0
	s_cbranch_vccnz .LBB8_1323
; %bb.1322:
	global_load_dword v2, v[4:5], off
	s_waitcnt vmcnt(0)
	v_cvt_f64_f32_e32 v[2:3], v2
.LBB8_1323:
	s_mov_b32 s0, 0
.LBB8_1324:
	s_andn2_b32 vcc_lo, exec_lo, s0
	s_cbranch_vccnz .LBB8_1326
; %bb.1325:
	global_load_ushort v2, v[4:5], off
	s_waitcnt vmcnt(0)
	v_cvt_f32_f16_e32 v2, v2
	v_cvt_f64_f32_e32 v[2:3], v2
.LBB8_1326:
	s_cbranch_execnz .LBB8_1346
.LBB8_1327:
	s_cmp_lt_i32 s5, 2
	s_cbranch_scc1 .LBB8_1331
; %bb.1328:
	s_cmp_lt_i32 s5, 3
	s_cbranch_scc1 .LBB8_1332
; %bb.1329:
	s_cmp_gt_i32 s5, 3
	s_cbranch_scc0 .LBB8_1333
; %bb.1330:
	global_load_dwordx2 v[2:3], v[4:5], off
	s_mov_b32 s0, 0
	s_waitcnt vmcnt(0)
	v_cvt_f64_i32_e32 v[6:7], v3
	v_cvt_f64_u32_e32 v[2:3], v2
	v_ldexp_f64 v[6:7], v[6:7], 32
	v_add_f64 v[2:3], v[6:7], v[2:3]
	s_branch .LBB8_1334
.LBB8_1331:
	s_mov_b32 s0, -1
                                        ; implicit-def: $vgpr2_vgpr3
	s_branch .LBB8_1340
.LBB8_1332:
	s_mov_b32 s0, -1
                                        ; implicit-def: $vgpr2_vgpr3
	s_branch .LBB8_1337
.LBB8_1333:
	s_mov_b32 s0, -1
                                        ; implicit-def: $vgpr2_vgpr3
.LBB8_1334:
	s_andn2_b32 vcc_lo, exec_lo, s0
	s_cbranch_vccnz .LBB8_1336
; %bb.1335:
	global_load_dword v2, v[4:5], off
	s_waitcnt vmcnt(0)
	v_cvt_f64_i32_e32 v[2:3], v2
.LBB8_1336:
	s_mov_b32 s0, 0
.LBB8_1337:
	s_andn2_b32 vcc_lo, exec_lo, s0
	s_cbranch_vccnz .LBB8_1339
; %bb.1338:
	global_load_sshort v2, v[4:5], off
	s_waitcnt vmcnt(0)
	v_cvt_f64_i32_e32 v[2:3], v2
.LBB8_1339:
	s_mov_b32 s0, 0
.LBB8_1340:
	s_andn2_b32 vcc_lo, exec_lo, s0
	s_cbranch_vccnz .LBB8_1346
; %bb.1341:
	s_cmp_gt_i32 s5, 0
	s_mov_b32 s0, 0
	s_cbranch_scc0 .LBB8_1343
; %bb.1342:
	global_load_sbyte v2, v[4:5], off
	s_waitcnt vmcnt(0)
	v_cvt_f64_i32_e32 v[2:3], v2
	s_branch .LBB8_1344
.LBB8_1343:
	s_mov_b32 s0, -1
                                        ; implicit-def: $vgpr2_vgpr3
.LBB8_1344:
	s_andn2_b32 vcc_lo, exec_lo, s0
	s_cbranch_vccnz .LBB8_1346
; %bb.1345:
	global_load_ubyte v2, v[4:5], off
	s_waitcnt vmcnt(0)
	v_cvt_f64_u32_e32 v[2:3], v2
.LBB8_1346:
.LBB8_1347:
	s_waitcnt vmcnt(0)
	v_cmp_ge_f64_e64 s0, 0x40200000, |v[2:3]|
                                        ; implicit-def: $vgpr4_vgpr5
	s_and_saveexec_b32 s12, s0
	s_xor_b32 s0, exec_lo, s12
	s_cbranch_execz .LBB8_1353
; %bb.1348:
	v_fma_f64 v[4:5], |v[2:3]|, 0.5, -2.0
	s_mov_b32 s12, 0xc38a0576
	s_mov_b32 s13, 0xbc7857d0
	;; [unrolled: 1-line block ×4, first 2 shown]
	v_fma_f64 v[6:7], v[4:5], s[14:15], s[12:13]
	s_mov_b32 s15, 0xbc499f2a
	s_mov_b32 s12, 0xe593bfac
	;; [unrolled: 1-line block ×3, first 2 shown]
	v_fma_f64 v[8:9], v[4:5], v[6:7], s[14:15]
	s_mov_b32 s14, 0x3b39803f
	s_mov_b32 s15, 0xbc7abc9e
	v_add_f64 v[8:9], v[8:9], s[12:13]
	s_mov_b32 s12, 0x7e0d1573
	s_mov_b32 s13, 0xbcd3eaaa
	v_fma_f64 v[6:7], v[4:5], v[8:9], -v[6:7]
	v_add_f64 v[6:7], v[6:7], s[12:13]
	s_mov_b32 s12, 0x615290c
	s_mov_b32 s13, 0x3d011d7f
	v_fma_f64 v[8:9], v[4:5], v[6:7], -v[8:9]
	;; [unrolled: 4-line block ×20, first 2 shown]
	v_add_f64 v[8:9], v[8:9], s[12:13]
	s_mov_b32 s12, 0x652b82fe
	s_mov_b32 s13, 0x3ff71547
	v_mul_f64 v[11:12], |v[2:3]|, s[12:13]
	s_mov_b32 s12, 0x7913a26a
	s_mov_b32 s13, 0xbf85a29f
	v_fma_f64 v[6:7], v[4:5], v[8:9], -v[6:7]
	v_rndne_f64_e32 v[11:12], v[11:12]
	v_add_f64 v[6:7], v[6:7], s[12:13]
	s_mov_b32 s12, 0xfefa39ef
	s_mov_b32 s13, 0xbfe62e42
	v_fma_f64 v[15:16], v[11:12], s[12:13], |v[2:3]|
	s_mov_b32 s12, 0xe7bb2349
	s_mov_b32 s13, 0x3f9951e3
	v_fma_f64 v[8:9], v[4:5], v[6:7], -v[8:9]
	v_fma_f64 v[15:16], v[11:12], s[14:15], v[15:16]
	s_mov_b32 s14, 0x6a5dcb37
	s_mov_b32 s15, 0x3e5ade15
	v_cvt_i32_f64_e32 v11, v[11:12]
	v_add_f64 v[8:9], v[8:9], s[12:13]
	s_mov_b32 s12, 0xfca7ab0c
	s_mov_b32 s13, 0x3e928af3
	v_fma_f64 v[17:18], v[15:16], s[14:15], s[12:13]
	s_mov_b32 s12, 0x537c9ebc
	s_mov_b32 s14, 0x623fde64
	;; [unrolled: 1-line block ×4, first 2 shown]
	v_fma_f64 v[6:7], v[4:5], v[8:9], -v[6:7]
	v_fma_f64 v[17:18], v[15:16], v[17:18], s[14:15]
	s_mov_b32 s14, 0x14761f6e
	s_mov_b32 s15, 0x3f2a01a0
	v_add_f64 v[6:7], v[6:7], s[12:13]
	s_mov_b32 s12, 0x7c89e6b0
	s_mov_b32 s13, 0x3efa0199
	v_fma_f64 v[17:18], v[15:16], v[17:18], s[12:13]
	s_mov_b32 s12, 0xd536f53c
	s_mov_b32 s13, 0x3fba46da
	v_fma_f64 v[8:9], v[4:5], v[6:7], -v[8:9]
	v_fma_f64 v[17:18], v[15:16], v[17:18], s[14:15]
	s_mov_b32 s14, 0x11122322
	s_mov_b32 s15, 0x3f811111
	v_add_f64 v[8:9], v[8:9], s[12:13]
	s_mov_b32 s12, 0x1852b7b0
	s_mov_b32 s13, 0x3f56c16c
	v_fma_f64 v[17:18], v[15:16], v[17:18], s[12:13]
	s_mov_b32 s12, 0x469192e
	s_mov_b32 s13, 0xbfc694d1
	;; [unrolled: 10-line block ×3, first 2 shown]
	v_fma_f64 v[4:5], v[4:5], v[6:7], -v[8:9]
	v_fma_f64 v[6:7], v[15:16], v[17:18], s[14:15]
	v_add_f64 v[4:5], v[4:5], s[12:13]
	s_mov_b32 s12, 11
	s_mov_b32 s13, 0x3fe00000
	v_fma_f64 v[6:7], v[15:16], v[6:7], s[12:13]
	s_mov_b32 s12, exec_lo
	v_add_f64 v[4:5], v[4:5], -v[8:9]
	v_fma_f64 v[6:7], v[15:16], v[6:7], 1.0
	v_mul_f64 v[4:5], v[4:5], 0.5
	v_fma_f64 v[8:9], v[15:16], v[6:7], 1.0
	v_mul_f64 v[6:7], |v[2:3]|, v[4:5]
                                        ; implicit-def: $vgpr4_vgpr5
	v_cmpx_ngt_f64_e32 0, v[2:3]
	s_xor_b32 s12, exec_lo, s12
	s_cbranch_execz .LBB8_1350
; %bb.1349:
	v_ldexp_f64 v[4:5], v[8:9], v11
	v_cmp_nlt_f64_e64 vcc_lo, 0x40900000, |v[2:3]|
                                        ; implicit-def: $vgpr8_vgpr9
                                        ; implicit-def: $vgpr11
	v_cndmask_b32_e32 v3, 0x7ff00000, v5, vcc_lo
	v_cndmask_b32_e32 v2, 0, v4, vcc_lo
	v_mul_f64 v[4:5], v[2:3], v[6:7]
                                        ; implicit-def: $vgpr2_vgpr3
                                        ; implicit-def: $vgpr6_vgpr7
.LBB8_1350:
	s_andn2_saveexec_b32 s12, s12
	s_cbranch_execz .LBB8_1352
; %bb.1351:
	v_ldexp_f64 v[4:5], -v[8:9], v11
	v_cmp_nlt_f64_e64 vcc_lo, 0x40900000, |v[2:3]|
	v_cndmask_b32_e32 v3, 0xfff00000, v5, vcc_lo
	v_cndmask_b32_e32 v2, 0, v4, vcc_lo
	v_mul_f64 v[4:5], v[2:3], v[6:7]
.LBB8_1352:
	s_or_b32 exec_lo, exec_lo, s12
                                        ; implicit-def: $vgpr2_vgpr3
.LBB8_1353:
	s_andn2_saveexec_b32 s12, s0
	s_cbranch_execz .LBB8_1359
; %bb.1354:
	v_and_b32_e32 v5, 0x7fffffff, v3
	v_mov_b32_e32 v4, v2
	s_mov_b32 s14, 0xea87b950
	s_mov_b32 s15, 0x3c545b8a
	;; [unrolled: 1-line block ×4, first 2 shown]
	v_div_scale_f64 v[6:7], null, v[4:5], v[4:5], 0x40400000
	v_div_scale_f64 v[4:5], vcc_lo, 0x40400000, v[4:5], 0x40400000
	v_cmp_ngt_f64_e64 s0, 0, v[2:3]
	v_rcp_f64_e32 v[8:9], v[6:7]
	v_fma_f64 v[11:12], -v[6:7], v[8:9], 1.0
	v_fma_f64 v[8:9], v[8:9], v[11:12], v[8:9]
	v_fma_f64 v[11:12], -v[6:7], v[8:9], 1.0
	v_fma_f64 v[8:9], v[8:9], v[11:12], v[8:9]
	v_mul_f64 v[11:12], v[4:5], v[8:9]
	v_fma_f64 v[4:5], -v[6:7], v[11:12], v[4:5]
	v_div_fmas_f64 v[4:5], v[4:5], v[8:9], v[11:12]
	v_cmp_nlt_f64_e64 vcc_lo, 0x40900000, |v[2:3]|
	v_div_fixup_f64 v[4:5], v[4:5], |v[2:3]|, 0x40400000
	v_add_f64 v[4:5], v[4:5], -2.0
	v_fma_f64 v[6:7], v[4:5], s[16:17], s[14:15]
	s_mov_b32 s17, 0xbc61556d
	s_mov_b32 s14, 0xb2532277
	;; [unrolled: 1-line block ×3, first 2 shown]
	v_fma_f64 v[8:9], v[4:5], v[6:7], s[16:17]
	s_mov_b32 s16, 0x6a5dcb37
	s_mov_b32 s17, 0x3e5ade15
	v_add_f64 v[8:9], v[8:9], s[14:15]
	s_mov_b32 s14, 0x9c773320
	s_mov_b32 s15, 0xbc82806c
	v_fma_f64 v[6:7], v[4:5], v[8:9], -v[6:7]
	v_add_f64 v[6:7], v[6:7], s[14:15]
	s_mov_b32 s14, 0xfceb588a
	s_mov_b32 s15, 0x3cb55915
	v_fma_f64 v[8:9], v[4:5], v[6:7], -v[8:9]
	;; [unrolled: 4-line block ×14, first 2 shown]
	v_add_f64 v[8:9], v[8:9], s[14:15]
	s_mov_b32 s14, 0x652b82fe
	s_mov_b32 s15, 0x3ff71547
	v_mul_f64 v[11:12], |v[2:3]|, s[14:15]
	s_mov_b32 s14, 0x5423dd80
	s_mov_b32 s15, 0xbe0334ca
	v_fma_f64 v[6:7], v[4:5], v[8:9], -v[6:7]
	v_rndne_f64_e32 v[11:12], v[11:12]
	v_add_f64 v[6:7], v[6:7], s[14:15]
	s_mov_b32 s14, 0xfefa39ef
	s_mov_b32 s15, 0xbfe62e42
	v_fma_f64 v[15:16], v[11:12], s[14:15], |v[2:3]|
	s_mov_b32 s14, 0x9ad53528
	s_mov_b32 s15, 0xbe30790b
	v_fma_f64 v[8:9], v[4:5], v[6:7], -v[8:9]
	v_add_f64 v[8:9], v[8:9], s[14:15]
	s_mov_b32 s14, 0x3b39803f
	s_mov_b32 s15, 0xbc7abc9e
	v_fma_f64 v[15:16], v[11:12], s[14:15], v[15:16]
	s_mov_b32 s14, 0xfca7ab0c
	s_mov_b32 s15, 0x3e928af3
	v_cvt_i32_f64_e32 v11, v[11:12]
	v_fma_f64 v[6:7], v[4:5], v[8:9], -v[6:7]
	v_fma_f64 v[17:18], v[15:16], s[16:17], s[14:15]
	s_mov_b32 s14, 0x94bb46c1
	s_mov_b32 s15, 0xbe5c4153
	v_add_f64 v[6:7], v[6:7], s[14:15]
	s_mov_b32 s14, 0x623fde64
	s_mov_b32 s15, 0x3ec71dee
	v_fma_f64 v[17:18], v[15:16], v[17:18], s[14:15]
	s_mov_b32 s14, 0x7c89e6b0
	s_mov_b32 s15, 0x3efa0199
	v_fma_f64 v[8:9], v[4:5], v[6:7], -v[8:9]
	v_fma_f64 v[17:18], v[15:16], v[17:18], s[14:15]
	s_mov_b32 s14, 0x2e9e5443
	s_mov_b32 s15, 0xbe90dbfd
	v_add_f64 v[8:9], v[8:9], s[14:15]
	s_mov_b32 s14, 0x14761f6e
	s_mov_b32 s15, 0x3f2a01a0
	v_fma_f64 v[17:18], v[15:16], v[17:18], s[14:15]
	s_mov_b32 s14, 0x1852b7b0
	s_mov_b32 s15, 0x3f56c16c
	;; [unrolled: 10-line block ×4, first 2 shown]
	v_fma_f64 v[6:7], v[4:5], v[8:9], -v[6:7]
	v_fma_f64 v[17:18], v[15:16], v[17:18], s[14:15]
	s_mov_b32 s14, 0x53fcdb4c
	s_mov_b32 s15, 0xbf83fda0
	v_add_f64 v[6:7], v[6:7], s[14:15]
	s_mov_b32 s14, 0xb55b1514
	s_mov_b32 s15, 0x3fe8ea18
	v_fma_f64 v[17:18], v[15:16], v[17:18], 1.0
	v_fma_f64 v[4:5], v[4:5], v[6:7], -v[8:9]
	v_fma_f64 v[6:7], v[15:16], v[17:18], 1.0
	v_add_f64 v[4:5], v[4:5], s[14:15]
	v_ldexp_f64 v[6:7], v[6:7], v11
	v_add_f64 v[8:9], v[4:5], -v[8:9]
                                        ; implicit-def: $vgpr4_vgpr5
	v_cndmask_b32_e32 v7, 0x7ff00000, v7, vcc_lo
	v_cndmask_b32_e32 v6, 0, v6, vcc_lo
	s_and_saveexec_b32 s13, s0
	s_xor_b32 s0, exec_lo, s13
	s_cbranch_execz .LBB8_1356
; %bb.1355:
	v_cmp_gt_f64_e64 s13, 0x10000000, |v[2:3]|
	v_mul_f64 v[8:9], v[8:9], 0.5
	v_cndmask_b32_e64 v4, 0, 0x100, s13
	v_mul_f64 v[6:7], v[6:7], v[8:9]
	v_ldexp_f64 v[2:3], |v[2:3]|, v4
	v_rsq_f64_e32 v[4:5], v[2:3]
	v_cmp_class_f64_e64 vcc_lo, v[2:3], 0x260
	v_mul_f64 v[11:12], v[2:3], v[4:5]
	v_mul_f64 v[4:5], v[4:5], 0.5
	v_fma_f64 v[15:16], -v[4:5], v[11:12], 0.5
	v_fma_f64 v[11:12], v[11:12], v[15:16], v[11:12]
	v_fma_f64 v[4:5], v[4:5], v[15:16], v[4:5]
	v_fma_f64 v[15:16], -v[11:12], v[11:12], v[2:3]
	v_fma_f64 v[11:12], v[15:16], v[4:5], v[11:12]
	v_fma_f64 v[15:16], -v[11:12], v[11:12], v[2:3]
	v_fma_f64 v[4:5], v[15:16], v[4:5], v[11:12]
	v_cndmask_b32_e64 v11, 0, 0xffffff80, s13
	v_ldexp_f64 v[4:5], v[4:5], v11
	v_cndmask_b32_e32 v3, v5, v3, vcc_lo
	v_cndmask_b32_e32 v2, v4, v2, vcc_lo
	v_div_scale_f64 v[4:5], null, v[2:3], v[2:3], v[6:7]
	v_rcp_f64_e32 v[8:9], v[4:5]
	v_fma_f64 v[11:12], -v[4:5], v[8:9], 1.0
	v_fma_f64 v[8:9], v[8:9], v[11:12], v[8:9]
	v_fma_f64 v[11:12], -v[4:5], v[8:9], 1.0
	v_fma_f64 v[8:9], v[8:9], v[11:12], v[8:9]
	v_div_scale_f64 v[11:12], vcc_lo, v[6:7], v[2:3], v[6:7]
	v_mul_f64 v[15:16], v[11:12], v[8:9]
	v_fma_f64 v[4:5], -v[4:5], v[15:16], v[11:12]
	v_div_fmas_f64 v[4:5], v[4:5], v[8:9], v[15:16]
                                        ; implicit-def: $vgpr8_vgpr9
	v_div_fixup_f64 v[4:5], v[4:5], v[2:3], v[6:7]
                                        ; implicit-def: $vgpr2_vgpr3
                                        ; implicit-def: $vgpr6_vgpr7
.LBB8_1356:
	s_andn2_saveexec_b32 s0, s0
	s_cbranch_execz .LBB8_1358
; %bb.1357:
	v_cmp_gt_f64_e64 s13, 0x10000000, |v[2:3]|
	v_mul_f64 v[8:9], v[8:9], -0.5
	v_cndmask_b32_e64 v4, 0, 0x100, s13
	v_mul_f64 v[6:7], v[6:7], v[8:9]
	v_ldexp_f64 v[2:3], |v[2:3]|, v4
	v_rsq_f64_e32 v[4:5], v[2:3]
	v_cmp_class_f64_e64 vcc_lo, v[2:3], 0x260
	v_mul_f64 v[11:12], v[2:3], v[4:5]
	v_mul_f64 v[4:5], v[4:5], 0.5
	v_fma_f64 v[15:16], -v[4:5], v[11:12], 0.5
	v_fma_f64 v[11:12], v[11:12], v[15:16], v[11:12]
	v_fma_f64 v[4:5], v[4:5], v[15:16], v[4:5]
	v_fma_f64 v[15:16], -v[11:12], v[11:12], v[2:3]
	v_fma_f64 v[11:12], v[15:16], v[4:5], v[11:12]
	v_fma_f64 v[15:16], -v[11:12], v[11:12], v[2:3]
	v_fma_f64 v[4:5], v[15:16], v[4:5], v[11:12]
	v_cndmask_b32_e64 v11, 0, 0xffffff80, s13
	v_ldexp_f64 v[4:5], v[4:5], v11
	v_cndmask_b32_e32 v3, v5, v3, vcc_lo
	v_cndmask_b32_e32 v2, v4, v2, vcc_lo
	v_div_scale_f64 v[4:5], null, v[2:3], v[2:3], v[6:7]
	v_rcp_f64_e32 v[8:9], v[4:5]
	v_fma_f64 v[11:12], -v[4:5], v[8:9], 1.0
	v_fma_f64 v[8:9], v[8:9], v[11:12], v[8:9]
	v_fma_f64 v[11:12], -v[4:5], v[8:9], 1.0
	v_fma_f64 v[8:9], v[8:9], v[11:12], v[8:9]
	v_div_scale_f64 v[11:12], vcc_lo, v[6:7], v[2:3], v[6:7]
	v_mul_f64 v[15:16], v[11:12], v[8:9]
	v_fma_f64 v[4:5], -v[4:5], v[15:16], v[11:12]
	v_div_fmas_f64 v[4:5], v[4:5], v[8:9], v[15:16]
	v_div_fixup_f64 v[4:5], v[4:5], v[2:3], v[6:7]
.LBB8_1358:
	s_or_b32 exec_lo, exec_lo, s0
.LBB8_1359:
	s_or_b32 exec_lo, exec_lo, s12
	v_add_nc_u32_e32 v12, s3, v10
	s_cmp_lt_i32 s5, 11
	v_ashrrev_i32_e32 v2, 31, v12
	v_add_co_u32 v6, vcc_lo, s10, v12
	v_add_co_ci_u32_e64 v7, null, s11, v2, vcc_lo
	s_cbranch_scc1 .LBB8_1366
; %bb.1360:
	s_cmp_gt_i32 s5, 25
	s_mov_b32 s12, 0
	s_cbranch_scc0 .LBB8_1368
; %bb.1361:
	s_cmp_gt_i32 s5, 28
	s_cbranch_scc0 .LBB8_1369
; %bb.1362:
	s_cmp_gt_i32 s5, 43
	;; [unrolled: 3-line block ×3, first 2 shown]
	s_cbranch_scc0 .LBB8_1372
; %bb.1364:
	s_cmp_eq_u32 s5, 46
	s_mov_b32 s14, 0
	s_cbranch_scc0 .LBB8_1373
; %bb.1365:
	global_load_dword v2, v[6:7], off
	s_mov_b32 s0, 0
	s_mov_b32 s13, -1
	s_waitcnt vmcnt(0)
	v_lshlrev_b32_e32 v2, 16, v2
	v_cvt_f64_f32_e32 v[2:3], v2
	s_branch .LBB8_1375
.LBB8_1366:
	s_mov_b32 s13, 0
                                        ; implicit-def: $vgpr2_vgpr3
	s_cbranch_execnz .LBB8_1441
.LBB8_1367:
	s_andn2_b32 vcc_lo, exec_lo, s13
	s_cbranch_vccnz .LBB8_1722
	s_branch .LBB8_1489
.LBB8_1368:
	s_mov_b32 s14, -1
	s_mov_b32 s13, 0
	s_mov_b32 s0, 0
                                        ; implicit-def: $vgpr2_vgpr3
	s_branch .LBB8_1406
.LBB8_1369:
	s_mov_b32 s14, -1
	s_mov_b32 s13, 0
	s_mov_b32 s0, 0
                                        ; implicit-def: $vgpr2_vgpr3
	s_branch .LBB8_1385
.LBB8_1370:
	s_mov_b32 s14, -1
	s_mov_b32 s13, 0
	s_mov_b32 s0, 0
                                        ; implicit-def: $vgpr2_vgpr3
	s_branch .LBB8_1380
.LBB8_1371:
	s_or_b32 s4, s4, exec_lo
	s_trap 2
	s_cbranch_execz .LBB8_1298
	s_branch .LBB8_1299
.LBB8_1372:
	s_mov_b32 s14, -1
	s_mov_b32 s13, 0
	s_mov_b32 s0, 0
	s_branch .LBB8_1374
.LBB8_1373:
	s_mov_b32 s0, -1
	s_mov_b32 s13, 0
.LBB8_1374:
                                        ; implicit-def: $vgpr2_vgpr3
.LBB8_1375:
	s_and_b32 vcc_lo, exec_lo, s14
	s_cbranch_vccz .LBB8_1379
; %bb.1376:
	s_cmp_eq_u32 s5, 44
	s_cbranch_scc0 .LBB8_1378
; %bb.1377:
	global_load_ubyte v8, v[6:7], off
	s_mov_b32 s0, 0
	s_mov_b32 s13, -1
	s_waitcnt vmcnt(0)
	v_lshlrev_b32_e32 v2, 23, v8
	v_cmp_ne_u32_e32 vcc_lo, 0xff, v8
	v_cvt_f64_f32_e32 v[2:3], v2
	v_cndmask_b32_e32 v2, 0x20000000, v2, vcc_lo
	v_cndmask_b32_e32 v3, 0x7ff80000, v3, vcc_lo
	v_cmp_ne_u32_e32 vcc_lo, 0, v8
	v_cndmask_b32_e32 v3, 0x38000000, v3, vcc_lo
	v_cndmask_b32_e32 v2, 0, v2, vcc_lo
	s_branch .LBB8_1379
.LBB8_1378:
	s_mov_b32 s0, -1
                                        ; implicit-def: $vgpr2_vgpr3
.LBB8_1379:
	s_mov_b32 s14, 0
.LBB8_1380:
	s_and_b32 vcc_lo, exec_lo, s14
	s_cbranch_vccz .LBB8_1384
; %bb.1381:
	s_cmp_eq_u32 s5, 29
	s_cbranch_scc0 .LBB8_1383
; %bb.1382:
	global_load_dwordx2 v[2:3], v[6:7], off
	s_mov_b32 s0, 0
	s_mov_b32 s13, -1
	s_mov_b32 s14, 0
	s_waitcnt vmcnt(0)
	v_cvt_f64_u32_e32 v[8:9], v3
	v_cvt_f64_u32_e32 v[2:3], v2
	v_ldexp_f64 v[8:9], v[8:9], 32
	v_add_f64 v[2:3], v[8:9], v[2:3]
	s_branch .LBB8_1385
.LBB8_1383:
	s_mov_b32 s0, -1
                                        ; implicit-def: $vgpr2_vgpr3
.LBB8_1384:
	s_mov_b32 s14, 0
.LBB8_1385:
	s_and_b32 vcc_lo, exec_lo, s14
	s_cbranch_vccz .LBB8_1405
; %bb.1386:
	s_cmp_lt_i32 s5, 27
	s_cbranch_scc1 .LBB8_1389
; %bb.1387:
	s_cmp_gt_i32 s5, 27
	s_cbranch_scc0 .LBB8_1390
; %bb.1388:
	global_load_dword v2, v[6:7], off
	s_mov_b32 s13, 0
	s_waitcnt vmcnt(0)
	v_cvt_f64_u32_e32 v[2:3], v2
	s_branch .LBB8_1391
.LBB8_1389:
	s_mov_b32 s13, -1
                                        ; implicit-def: $vgpr2_vgpr3
	s_branch .LBB8_1394
.LBB8_1390:
	s_mov_b32 s13, -1
                                        ; implicit-def: $vgpr2_vgpr3
.LBB8_1391:
	s_andn2_b32 vcc_lo, exec_lo, s13
	s_cbranch_vccnz .LBB8_1393
; %bb.1392:
	global_load_ushort v2, v[6:7], off
	s_waitcnt vmcnt(0)
	v_cvt_f64_u32_e32 v[2:3], v2
.LBB8_1393:
	s_mov_b32 s13, 0
.LBB8_1394:
	s_andn2_b32 vcc_lo, exec_lo, s13
	s_cbranch_vccnz .LBB8_1404
; %bb.1395:
	global_load_ubyte v8, v[6:7], off
	s_mov_b32 s13, 0
	s_mov_b32 s14, exec_lo
	s_waitcnt vmcnt(0)
	v_cmpx_lt_i16_e32 0x7f, v8
	s_xor_b32 s14, exec_lo, s14
	s_cbranch_execz .LBB8_1399
; %bb.1396:
	s_mov_b32 s13, -1
	s_mov_b32 s15, exec_lo
	v_cmpx_eq_u16_e32 0x80, v8
; %bb.1397:
	s_xor_b32 s13, exec_lo, -1
; %bb.1398:
	s_or_b32 exec_lo, exec_lo, s15
	s_and_b32 s13, s13, exec_lo
.LBB8_1399:
	s_or_saveexec_b32 s14, s14
	v_bfrev_b32_e32 v2, 4
	v_mov_b32_e32 v3, 0x7ff80000
	s_xor_b32 exec_lo, exec_lo, s14
; %bb.1400:
	v_cmp_ne_u16_e32 vcc_lo, 0, v8
	v_mov_b32_e32 v2, 0
	v_mov_b32_e32 v3, 0
	s_andn2_b32 s13, s13, exec_lo
	s_and_b32 s15, vcc_lo, exec_lo
	s_or_b32 s13, s13, s15
; %bb.1401:
	s_or_b32 exec_lo, exec_lo, s14
	s_and_saveexec_b32 s14, s13
	s_cbranch_execz .LBB8_1403
; %bb.1402:
	v_and_b32_e32 v2, 0xffff, v8
	v_lshlrev_b32_e32 v8, 24, v8
	v_and_b32_e32 v3, 7, v2
	v_bfe_u32 v11, v2, 3, 4
	v_ffbh_u32_e32 v9, v3
	v_cmp_eq_u32_e32 vcc_lo, 0, v11
	v_min_u32_e32 v9, 32, v9
	v_subrev_nc_u32_e32 v10, 28, v9
	v_sub_nc_u32_e32 v9, 29, v9
	v_lshlrev_b32_e32 v2, v10, v2
	v_cndmask_b32_e32 v9, v11, v9, vcc_lo
	v_and_b32_e32 v2, 7, v2
	v_cndmask_b32_e32 v2, v3, v2, vcc_lo
	v_and_b32_e32 v3, 0x80000000, v8
	v_lshl_add_u32 v8, v9, 23, 0x3b800000
	v_lshlrev_b32_e32 v2, 20, v2
	v_or3_b32 v2, v3, v8, v2
	v_cvt_f64_f32_e32 v[2:3], v2
.LBB8_1403:
	s_or_b32 exec_lo, exec_lo, s14
.LBB8_1404:
	s_mov_b32 s13, -1
.LBB8_1405:
	s_mov_b32 s14, 0
.LBB8_1406:
	s_and_b32 vcc_lo, exec_lo, s14
	s_cbranch_vccz .LBB8_1437
; %bb.1407:
	s_cmp_gt_i32 s5, 22
	s_cbranch_scc0 .LBB8_1419
; %bb.1408:
	s_cmp_lt_i32 s5, 24
	s_cbranch_scc1 .LBB8_1420
; %bb.1409:
	s_cmp_gt_i32 s5, 24
	s_cbranch_scc0 .LBB8_1421
; %bb.1410:
	global_load_ubyte v8, v[6:7], off
	s_mov_b32 s13, exec_lo
	s_waitcnt vmcnt(0)
	v_cmpx_lt_i16_e32 0x7f, v8
	s_xor_b32 s13, exec_lo, s13
	s_cbranch_execz .LBB8_1414
; %bb.1411:
	s_mov_b32 s12, -1
	s_mov_b32 s14, exec_lo
	v_cmpx_eq_u16_e32 0x80, v8
; %bb.1412:
	s_xor_b32 s12, exec_lo, -1
; %bb.1413:
	s_or_b32 exec_lo, exec_lo, s14
	s_and_b32 s12, s12, exec_lo
.LBB8_1414:
	s_or_saveexec_b32 s13, s13
	v_bfrev_b32_e32 v2, 4
	v_mov_b32_e32 v3, 0x7ff80000
	s_xor_b32 exec_lo, exec_lo, s13
; %bb.1415:
	v_cmp_ne_u16_e32 vcc_lo, 0, v8
	v_mov_b32_e32 v2, 0
	v_mov_b32_e32 v3, 0
	s_andn2_b32 s12, s12, exec_lo
	s_and_b32 s14, vcc_lo, exec_lo
	s_or_b32 s12, s12, s14
; %bb.1416:
	s_or_b32 exec_lo, exec_lo, s13
	s_and_saveexec_b32 s13, s12
	s_cbranch_execz .LBB8_1418
; %bb.1417:
	v_and_b32_e32 v2, 0xffff, v8
	v_lshlrev_b32_e32 v8, 24, v8
	v_and_b32_e32 v3, 3, v2
	v_bfe_u32 v11, v2, 2, 5
	v_ffbh_u32_e32 v9, v3
	v_cmp_eq_u32_e32 vcc_lo, 0, v11
	v_min_u32_e32 v9, 32, v9
	v_subrev_nc_u32_e32 v10, 29, v9
	v_sub_nc_u32_e32 v9, 30, v9
	v_lshlrev_b32_e32 v2, v10, v2
	v_cndmask_b32_e32 v9, v11, v9, vcc_lo
	v_and_b32_e32 v2, 3, v2
	v_cndmask_b32_e32 v2, v3, v2, vcc_lo
	v_and_b32_e32 v3, 0x80000000, v8
	v_lshl_add_u32 v8, v9, 23, 0x37800000
	v_lshlrev_b32_e32 v2, 21, v2
	v_or3_b32 v2, v3, v8, v2
	v_cvt_f64_f32_e32 v[2:3], v2
.LBB8_1418:
	s_or_b32 exec_lo, exec_lo, s13
	s_mov_b32 s12, 0
	s_branch .LBB8_1422
.LBB8_1419:
	s_mov_b32 s12, -1
                                        ; implicit-def: $vgpr2_vgpr3
	s_branch .LBB8_1428
.LBB8_1420:
	s_mov_b32 s12, -1
                                        ; implicit-def: $vgpr2_vgpr3
	s_branch .LBB8_1425
.LBB8_1421:
	s_mov_b32 s12, -1
                                        ; implicit-def: $vgpr2_vgpr3
.LBB8_1422:
	s_and_b32 vcc_lo, exec_lo, s12
	s_cbranch_vccz .LBB8_1424
; %bb.1423:
	global_load_ubyte v2, v[6:7], off
	s_waitcnt vmcnt(0)
	v_lshlrev_b32_e32 v2, 24, v2
	v_and_b32_e32 v3, 0x7f000000, v2
	v_ffbh_u32_e32 v8, v3
	v_add_nc_u32_e32 v10, 0x1000000, v3
	v_cmp_ne_u32_e32 vcc_lo, 0, v3
	v_min_u32_e32 v8, 32, v8
	v_sub_nc_u32_e64 v8, v8, 4 clamp
	v_lshlrev_b32_e32 v9, v8, v3
	v_lshlrev_b32_e32 v8, 23, v8
	v_lshrrev_b32_e32 v9, 4, v9
	v_sub_nc_u32_e32 v8, v9, v8
	v_ashrrev_i32_e32 v9, 8, v10
	v_add_nc_u32_e32 v8, 0x3c000000, v8
	v_and_or_b32 v8, 0x7f800000, v9, v8
	v_cndmask_b32_e32 v3, 0, v8, vcc_lo
	v_and_or_b32 v2, 0x80000000, v2, v3
	v_cvt_f64_f32_e32 v[2:3], v2
.LBB8_1424:
	s_mov_b32 s12, 0
.LBB8_1425:
	s_andn2_b32 vcc_lo, exec_lo, s12
	s_cbranch_vccnz .LBB8_1427
; %bb.1426:
	global_load_ubyte v2, v[6:7], off
	s_waitcnt vmcnt(0)
	v_lshlrev_b32_e32 v3, 25, v2
	v_lshlrev_b16 v2, 8, v2
	v_lshrrev_b32_e32 v8, 4, v3
	v_and_or_b32 v9, 0x7f00, v2, 0.5
	v_cmp_gt_u32_e32 vcc_lo, 0x8000000, v3
	v_bfe_i32 v2, v2, 0, 16
	v_or_b32_e32 v8, 0x70000000, v8
	v_add_f32_e32 v9, -0.5, v9
	v_mul_f32_e32 v8, 0x7800000, v8
	v_cndmask_b32_e32 v3, v8, v9, vcc_lo
	v_and_or_b32 v2, 0x80000000, v2, v3
	v_cvt_f64_f32_e32 v[2:3], v2
.LBB8_1427:
	s_mov_b32 s12, 0
	s_mov_b32 s13, -1
.LBB8_1428:
	s_andn2_b32 vcc_lo, exec_lo, s12
	s_mov_b32 s12, 0
	s_cbranch_vccnz .LBB8_1437
; %bb.1429:
	s_cmp_gt_i32 s5, 14
	s_cbranch_scc0 .LBB8_1432
; %bb.1430:
	s_cmp_eq_u32 s5, 15
	s_cbranch_scc0 .LBB8_1433
; %bb.1431:
	global_load_ushort v2, v[6:7], off
	s_mov_b32 s0, 0
	s_mov_b32 s13, -1
	s_waitcnt vmcnt(0)
	v_lshlrev_b32_e32 v2, 16, v2
	v_cvt_f64_f32_e32 v[2:3], v2
	s_branch .LBB8_1435
.LBB8_1432:
	s_mov_b32 s12, -1
	s_branch .LBB8_1434
.LBB8_1433:
	s_mov_b32 s0, -1
.LBB8_1434:
                                        ; implicit-def: $vgpr2_vgpr3
.LBB8_1435:
	s_and_b32 vcc_lo, exec_lo, s12
	s_mov_b32 s12, 0
	s_cbranch_vccz .LBB8_1437
; %bb.1436:
	s_cmp_lg_u32 s5, 11
	s_mov_b32 s12, -1
	s_cselect_b32 s0, -1, 0
.LBB8_1437:
	s_and_b32 vcc_lo, exec_lo, s0
	s_cbranch_vccnz .LBB8_1512
; %bb.1438:
	s_andn2_b32 vcc_lo, exec_lo, s12
	s_cbranch_vccnz .LBB8_1440
.LBB8_1439:
	global_load_ubyte v2, v[6:7], off
	s_mov_b32 s13, -1
	s_waitcnt vmcnt(0)
	v_cmp_ne_u16_e32 vcc_lo, 0, v2
	v_mov_b32_e32 v2, 0
	v_cndmask_b32_e64 v3, 0, 0x3ff00000, vcc_lo
.LBB8_1440:
	s_branch .LBB8_1367
.LBB8_1441:
	s_cmp_lt_i32 s5, 5
	s_cbranch_scc1 .LBB8_1446
; %bb.1442:
	s_cmp_lt_i32 s5, 8
	s_cbranch_scc1 .LBB8_1447
; %bb.1443:
	;; [unrolled: 3-line block ×3, first 2 shown]
	s_cmp_gt_i32 s5, 9
	s_cbranch_scc0 .LBB8_1449
; %bb.1445:
	global_load_dwordx2 v[2:3], v[6:7], off
	s_mov_b32 s0, 0
	s_branch .LBB8_1450
.LBB8_1446:
	s_mov_b32 s0, -1
                                        ; implicit-def: $vgpr2_vgpr3
	s_branch .LBB8_1468
.LBB8_1447:
	s_mov_b32 s0, -1
                                        ; implicit-def: $vgpr2_vgpr3
	s_branch .LBB8_1456
.LBB8_1448:
	s_mov_b32 s0, -1
                                        ; implicit-def: $vgpr2_vgpr3
	s_branch .LBB8_1453
.LBB8_1449:
	s_mov_b32 s0, -1
                                        ; implicit-def: $vgpr2_vgpr3
.LBB8_1450:
	s_andn2_b32 vcc_lo, exec_lo, s0
	s_cbranch_vccnz .LBB8_1452
; %bb.1451:
	global_load_dword v2, v[6:7], off
	s_waitcnt vmcnt(0)
	v_cvt_f64_f32_e32 v[2:3], v2
.LBB8_1452:
	s_mov_b32 s0, 0
.LBB8_1453:
	s_andn2_b32 vcc_lo, exec_lo, s0
	s_cbranch_vccnz .LBB8_1455
; %bb.1454:
	global_load_dword v2, v[6:7], off
	s_waitcnt vmcnt(0)
	v_cvt_f32_f16_e32 v2, v2
	v_cvt_f64_f32_e32 v[2:3], v2
.LBB8_1455:
	s_mov_b32 s0, 0
.LBB8_1456:
	s_andn2_b32 vcc_lo, exec_lo, s0
	s_cbranch_vccnz .LBB8_1467
; %bb.1457:
	s_cmp_lt_i32 s5, 6
	s_cbranch_scc1 .LBB8_1460
; %bb.1458:
	s_cmp_gt_i32 s5, 6
	s_cbranch_scc0 .LBB8_1461
; %bb.1459:
	global_load_dwordx2 v[2:3], v[6:7], off
	s_mov_b32 s0, 0
	s_branch .LBB8_1462
.LBB8_1460:
	s_mov_b32 s0, -1
                                        ; implicit-def: $vgpr2_vgpr3
	s_branch .LBB8_1465
.LBB8_1461:
	s_mov_b32 s0, -1
                                        ; implicit-def: $vgpr2_vgpr3
.LBB8_1462:
	s_andn2_b32 vcc_lo, exec_lo, s0
	s_cbranch_vccnz .LBB8_1464
; %bb.1463:
	global_load_dword v2, v[6:7], off
	s_waitcnt vmcnt(0)
	v_cvt_f64_f32_e32 v[2:3], v2
.LBB8_1464:
	s_mov_b32 s0, 0
.LBB8_1465:
	s_andn2_b32 vcc_lo, exec_lo, s0
	s_cbranch_vccnz .LBB8_1467
; %bb.1466:
	global_load_ushort v2, v[6:7], off
	s_waitcnt vmcnt(0)
	v_cvt_f32_f16_e32 v2, v2
	v_cvt_f64_f32_e32 v[2:3], v2
.LBB8_1467:
	s_mov_b32 s0, 0
.LBB8_1468:
	s_andn2_b32 vcc_lo, exec_lo, s0
	s_cbranch_vccnz .LBB8_1488
; %bb.1469:
	s_cmp_lt_i32 s5, 2
	s_cbranch_scc1 .LBB8_1473
; %bb.1470:
	s_cmp_lt_i32 s5, 3
	s_cbranch_scc1 .LBB8_1474
; %bb.1471:
	s_cmp_gt_i32 s5, 3
	s_cbranch_scc0 .LBB8_1475
; %bb.1472:
	global_load_dwordx2 v[2:3], v[6:7], off
	s_mov_b32 s0, 0
	s_waitcnt vmcnt(0)
	v_cvt_f64_i32_e32 v[8:9], v3
	v_cvt_f64_u32_e32 v[2:3], v2
	v_ldexp_f64 v[8:9], v[8:9], 32
	v_add_f64 v[2:3], v[8:9], v[2:3]
	s_branch .LBB8_1476
.LBB8_1473:
	s_mov_b32 s0, -1
                                        ; implicit-def: $vgpr2_vgpr3
	s_branch .LBB8_1482
.LBB8_1474:
	s_mov_b32 s0, -1
                                        ; implicit-def: $vgpr2_vgpr3
	s_branch .LBB8_1479
.LBB8_1475:
	s_mov_b32 s0, -1
                                        ; implicit-def: $vgpr2_vgpr3
.LBB8_1476:
	s_andn2_b32 vcc_lo, exec_lo, s0
	s_cbranch_vccnz .LBB8_1478
; %bb.1477:
	global_load_dword v2, v[6:7], off
	s_waitcnt vmcnt(0)
	v_cvt_f64_i32_e32 v[2:3], v2
.LBB8_1478:
	s_mov_b32 s0, 0
.LBB8_1479:
	s_andn2_b32 vcc_lo, exec_lo, s0
	s_cbranch_vccnz .LBB8_1481
; %bb.1480:
	global_load_sshort v2, v[6:7], off
	s_waitcnt vmcnt(0)
	v_cvt_f64_i32_e32 v[2:3], v2
.LBB8_1481:
	s_mov_b32 s0, 0
.LBB8_1482:
	s_andn2_b32 vcc_lo, exec_lo, s0
	s_cbranch_vccnz .LBB8_1488
; %bb.1483:
	s_cmp_gt_i32 s5, 0
	s_mov_b32 s0, 0
	s_cbranch_scc0 .LBB8_1485
; %bb.1484:
	global_load_sbyte v2, v[6:7], off
	s_waitcnt vmcnt(0)
	v_cvt_f64_i32_e32 v[2:3], v2
	s_branch .LBB8_1486
.LBB8_1485:
	s_mov_b32 s0, -1
                                        ; implicit-def: $vgpr2_vgpr3
.LBB8_1486:
	s_andn2_b32 vcc_lo, exec_lo, s0
	s_cbranch_vccnz .LBB8_1488
; %bb.1487:
	global_load_ubyte v2, v[6:7], off
	s_waitcnt vmcnt(0)
	v_cvt_f64_u32_e32 v[2:3], v2
.LBB8_1488:
.LBB8_1489:
	s_waitcnt vmcnt(0)
	v_cmp_ge_f64_e64 s0, 0x40200000, |v[2:3]|
                                        ; implicit-def: $vgpr8_vgpr9
	s_and_saveexec_b32 s12, s0
	s_xor_b32 s0, exec_lo, s12
	s_cbranch_execz .LBB8_1495
; %bb.1490:
	v_fma_f64 v[6:7], |v[2:3]|, 0.5, -2.0
	s_mov_b32 s12, 0xc38a0576
	s_mov_b32 s13, 0xbc7857d0
	;; [unrolled: 1-line block ×4, first 2 shown]
	v_fma_f64 v[8:9], v[6:7], s[14:15], s[12:13]
	s_mov_b32 s15, 0xbc499f2a
	s_mov_b32 s12, 0xe593bfac
	;; [unrolled: 1-line block ×3, first 2 shown]
	v_fma_f64 v[10:11], v[6:7], v[8:9], s[14:15]
	s_mov_b32 s14, 0x3b39803f
	s_mov_b32 s15, 0xbc7abc9e
	v_add_f64 v[10:11], v[10:11], s[12:13]
	s_mov_b32 s12, 0x7e0d1573
	s_mov_b32 s13, 0xbcd3eaaa
	v_fma_f64 v[8:9], v[6:7], v[10:11], -v[8:9]
	v_add_f64 v[8:9], v[8:9], s[12:13]
	s_mov_b32 s12, 0x615290c
	s_mov_b32 s13, 0x3d011d7f
	v_fma_f64 v[10:11], v[6:7], v[8:9], -v[10:11]
	;; [unrolled: 4-line block ×20, first 2 shown]
	v_add_f64 v[10:11], v[10:11], s[12:13]
	s_mov_b32 s12, 0x652b82fe
	s_mov_b32 s13, 0x3ff71547
	v_mul_f64 v[15:16], |v[2:3]|, s[12:13]
	s_mov_b32 s12, 0x7913a26a
	s_mov_b32 s13, 0xbf85a29f
	v_fma_f64 v[8:9], v[6:7], v[10:11], -v[8:9]
	v_rndne_f64_e32 v[15:16], v[15:16]
	v_add_f64 v[8:9], v[8:9], s[12:13]
	s_mov_b32 s12, 0xfefa39ef
	s_mov_b32 s13, 0xbfe62e42
	v_fma_f64 v[17:18], v[15:16], s[12:13], |v[2:3]|
	s_mov_b32 s12, 0xe7bb2349
	s_mov_b32 s13, 0x3f9951e3
	v_cvt_i32_f64_e32 v13, v[15:16]
	v_fma_f64 v[10:11], v[6:7], v[8:9], -v[10:11]
	v_fma_f64 v[17:18], v[15:16], s[14:15], v[17:18]
	s_mov_b32 s14, 0x6a5dcb37
	s_mov_b32 s15, 0x3e5ade15
	v_add_f64 v[10:11], v[10:11], s[12:13]
	s_mov_b32 s12, 0xfca7ab0c
	s_mov_b32 s13, 0x3e928af3
	v_fma_f64 v[19:20], v[17:18], s[14:15], s[12:13]
	s_mov_b32 s12, 0x537c9ebc
	s_mov_b32 s14, 0x623fde64
	;; [unrolled: 1-line block ×4, first 2 shown]
	v_fma_f64 v[8:9], v[6:7], v[10:11], -v[8:9]
	v_fma_f64 v[19:20], v[17:18], v[19:20], s[14:15]
	s_mov_b32 s14, 0x14761f6e
	s_mov_b32 s15, 0x3f2a01a0
	v_add_f64 v[8:9], v[8:9], s[12:13]
	s_mov_b32 s12, 0x7c89e6b0
	s_mov_b32 s13, 0x3efa0199
	v_fma_f64 v[19:20], v[17:18], v[19:20], s[12:13]
	s_mov_b32 s12, 0xd536f53c
	s_mov_b32 s13, 0x3fba46da
	v_fma_f64 v[10:11], v[6:7], v[8:9], -v[10:11]
	v_fma_f64 v[19:20], v[17:18], v[19:20], s[14:15]
	s_mov_b32 s14, 0x11122322
	s_mov_b32 s15, 0x3f811111
	v_add_f64 v[10:11], v[10:11], s[12:13]
	s_mov_b32 s12, 0x1852b7b0
	s_mov_b32 s13, 0x3f56c16c
	v_fma_f64 v[19:20], v[17:18], v[19:20], s[12:13]
	s_mov_b32 s12, 0x469192e
	s_mov_b32 s13, 0xbfc694d1
	;; [unrolled: 10-line block ×3, first 2 shown]
	v_fma_f64 v[6:7], v[6:7], v[8:9], -v[10:11]
	v_fma_f64 v[8:9], v[17:18], v[19:20], s[14:15]
	v_add_f64 v[6:7], v[6:7], s[12:13]
	s_mov_b32 s12, 11
	s_mov_b32 s13, 0x3fe00000
	v_fma_f64 v[8:9], v[17:18], v[8:9], s[12:13]
	s_mov_b32 s12, exec_lo
	v_add_f64 v[6:7], v[6:7], -v[10:11]
	v_fma_f64 v[8:9], v[17:18], v[8:9], 1.0
	v_mul_f64 v[6:7], v[6:7], 0.5
	v_fma_f64 v[10:11], v[17:18], v[8:9], 1.0
                                        ; implicit-def: $vgpr8_vgpr9
	v_mul_f64 v[6:7], |v[2:3]|, v[6:7]
	v_cmpx_ngt_f64_e32 0, v[2:3]
	s_xor_b32 s12, exec_lo, s12
	s_cbranch_execz .LBB8_1492
; %bb.1491:
	v_ldexp_f64 v[8:9], v[10:11], v13
	v_cmp_nlt_f64_e64 vcc_lo, 0x40900000, |v[2:3]|
                                        ; implicit-def: $vgpr10_vgpr11
                                        ; implicit-def: $vgpr13
	v_cndmask_b32_e32 v3, 0x7ff00000, v9, vcc_lo
	v_cndmask_b32_e32 v2, 0, v8, vcc_lo
	v_mul_f64 v[8:9], v[2:3], v[6:7]
                                        ; implicit-def: $vgpr2_vgpr3
                                        ; implicit-def: $vgpr6_vgpr7
.LBB8_1492:
	s_andn2_saveexec_b32 s12, s12
	s_cbranch_execz .LBB8_1494
; %bb.1493:
	v_ldexp_f64 v[8:9], -v[10:11], v13
	v_cmp_nlt_f64_e64 vcc_lo, 0x40900000, |v[2:3]|
	v_cndmask_b32_e32 v3, 0xfff00000, v9, vcc_lo
	v_cndmask_b32_e32 v2, 0, v8, vcc_lo
	v_mul_f64 v[8:9], v[2:3], v[6:7]
.LBB8_1494:
	s_or_b32 exec_lo, exec_lo, s12
                                        ; implicit-def: $vgpr2_vgpr3
.LBB8_1495:
	s_andn2_saveexec_b32 s12, s0
	s_cbranch_execz .LBB8_1501
; %bb.1496:
	v_and_b32_e32 v7, 0x7fffffff, v3
	v_mov_b32_e32 v6, v2
	s_mov_b32 s14, 0xea87b950
	s_mov_b32 s15, 0x3c545b8a
	;; [unrolled: 1-line block ×4, first 2 shown]
	v_div_scale_f64 v[8:9], null, v[6:7], v[6:7], 0x40400000
	v_div_scale_f64 v[6:7], vcc_lo, 0x40400000, v[6:7], 0x40400000
	v_cmp_ngt_f64_e64 s0, 0, v[2:3]
	v_rcp_f64_e32 v[10:11], v[8:9]
	v_fma_f64 v[15:16], -v[8:9], v[10:11], 1.0
	v_fma_f64 v[10:11], v[10:11], v[15:16], v[10:11]
	v_fma_f64 v[15:16], -v[8:9], v[10:11], 1.0
	v_fma_f64 v[10:11], v[10:11], v[15:16], v[10:11]
	v_mul_f64 v[15:16], v[6:7], v[10:11]
	v_fma_f64 v[6:7], -v[8:9], v[15:16], v[6:7]
	v_div_fmas_f64 v[6:7], v[6:7], v[10:11], v[15:16]
	v_cmp_nlt_f64_e64 vcc_lo, 0x40900000, |v[2:3]|
	v_div_fixup_f64 v[6:7], v[6:7], |v[2:3]|, 0x40400000
	v_add_f64 v[6:7], v[6:7], -2.0
	v_fma_f64 v[8:9], v[6:7], s[16:17], s[14:15]
	s_mov_b32 s17, 0xbc61556d
	s_mov_b32 s14, 0xb2532277
	;; [unrolled: 1-line block ×3, first 2 shown]
	v_fma_f64 v[10:11], v[6:7], v[8:9], s[16:17]
	s_mov_b32 s16, 0x6a5dcb37
	s_mov_b32 s17, 0x3e5ade15
	v_add_f64 v[10:11], v[10:11], s[14:15]
	s_mov_b32 s14, 0x9c773320
	s_mov_b32 s15, 0xbc82806c
	v_fma_f64 v[8:9], v[6:7], v[10:11], -v[8:9]
	v_add_f64 v[8:9], v[8:9], s[14:15]
	s_mov_b32 s14, 0xfceb588a
	s_mov_b32 s15, 0x3cb55915
	v_fma_f64 v[10:11], v[6:7], v[8:9], -v[10:11]
	;; [unrolled: 4-line block ×14, first 2 shown]
	v_add_f64 v[10:11], v[10:11], s[14:15]
	s_mov_b32 s14, 0x652b82fe
	s_mov_b32 s15, 0x3ff71547
	v_mul_f64 v[15:16], |v[2:3]|, s[14:15]
	s_mov_b32 s14, 0x5423dd80
	s_mov_b32 s15, 0xbe0334ca
	v_fma_f64 v[8:9], v[6:7], v[10:11], -v[8:9]
	v_rndne_f64_e32 v[15:16], v[15:16]
	v_add_f64 v[8:9], v[8:9], s[14:15]
	s_mov_b32 s14, 0xfefa39ef
	s_mov_b32 s15, 0xbfe62e42
	v_fma_f64 v[17:18], v[15:16], s[14:15], |v[2:3]|
	s_mov_b32 s14, 0x9ad53528
	s_mov_b32 s15, 0xbe30790b
	v_cvt_i32_f64_e32 v13, v[15:16]
	v_fma_f64 v[10:11], v[6:7], v[8:9], -v[10:11]
	v_add_f64 v[10:11], v[10:11], s[14:15]
	s_mov_b32 s14, 0x3b39803f
	s_mov_b32 s15, 0xbc7abc9e
	v_fma_f64 v[17:18], v[15:16], s[14:15], v[17:18]
	s_mov_b32 s14, 0xfca7ab0c
	s_mov_b32 s15, 0x3e928af3
	v_fma_f64 v[8:9], v[6:7], v[10:11], -v[8:9]
	v_fma_f64 v[19:20], v[17:18], s[16:17], s[14:15]
	s_mov_b32 s14, 0x94bb46c1
	s_mov_b32 s15, 0xbe5c4153
	v_add_f64 v[8:9], v[8:9], s[14:15]
	s_mov_b32 s14, 0x623fde64
	s_mov_b32 s15, 0x3ec71dee
	v_fma_f64 v[19:20], v[17:18], v[19:20], s[14:15]
	s_mov_b32 s14, 0x7c89e6b0
	s_mov_b32 s15, 0x3efa0199
	v_fma_f64 v[10:11], v[6:7], v[8:9], -v[10:11]
	v_fma_f64 v[19:20], v[17:18], v[19:20], s[14:15]
	s_mov_b32 s14, 0x2e9e5443
	s_mov_b32 s15, 0xbe90dbfd
	;; [unrolled: 10-line block ×5, first 2 shown]
	v_add_f64 v[8:9], v[8:9], s[14:15]
	s_mov_b32 s14, 0xb55b1514
	s_mov_b32 s15, 0x3fe8ea18
	v_fma_f64 v[19:20], v[17:18], v[19:20], 1.0
	v_fma_f64 v[6:7], v[6:7], v[8:9], -v[10:11]
	v_fma_f64 v[8:9], v[17:18], v[19:20], 1.0
	v_add_f64 v[6:7], v[6:7], s[14:15]
	v_ldexp_f64 v[8:9], v[8:9], v13
	v_add_f64 v[10:11], v[6:7], -v[10:11]
	v_cndmask_b32_e32 v7, 0x7ff00000, v9, vcc_lo
	v_cndmask_b32_e32 v6, 0, v8, vcc_lo
                                        ; implicit-def: $vgpr8_vgpr9
	s_and_saveexec_b32 s13, s0
	s_xor_b32 s0, exec_lo, s13
	s_cbranch_execz .LBB8_1498
; %bb.1497:
	v_cmp_gt_f64_e64 s13, 0x10000000, |v[2:3]|
	v_mul_f64 v[10:11], v[10:11], 0.5
	v_cndmask_b32_e64 v8, 0, 0x100, s13
	v_cndmask_b32_e64 v13, 0, 0xffffff80, s13
	v_mul_f64 v[6:7], v[6:7], v[10:11]
	v_ldexp_f64 v[2:3], |v[2:3]|, v8
	v_rsq_f64_e32 v[8:9], v[2:3]
	v_cmp_class_f64_e64 vcc_lo, v[2:3], 0x260
	v_mul_f64 v[15:16], v[2:3], v[8:9]
	v_mul_f64 v[8:9], v[8:9], 0.5
	v_fma_f64 v[17:18], -v[8:9], v[15:16], 0.5
	v_fma_f64 v[15:16], v[15:16], v[17:18], v[15:16]
	v_fma_f64 v[8:9], v[8:9], v[17:18], v[8:9]
	v_fma_f64 v[17:18], -v[15:16], v[15:16], v[2:3]
	v_fma_f64 v[15:16], v[17:18], v[8:9], v[15:16]
	v_fma_f64 v[17:18], -v[15:16], v[15:16], v[2:3]
	v_fma_f64 v[8:9], v[17:18], v[8:9], v[15:16]
	v_ldexp_f64 v[8:9], v[8:9], v13
	v_cndmask_b32_e32 v3, v9, v3, vcc_lo
	v_cndmask_b32_e32 v2, v8, v2, vcc_lo
	v_div_scale_f64 v[8:9], null, v[2:3], v[2:3], v[6:7]
	v_rcp_f64_e32 v[10:11], v[8:9]
	v_fma_f64 v[15:16], -v[8:9], v[10:11], 1.0
	v_fma_f64 v[10:11], v[10:11], v[15:16], v[10:11]
	v_fma_f64 v[15:16], -v[8:9], v[10:11], 1.0
	v_fma_f64 v[10:11], v[10:11], v[15:16], v[10:11]
	v_div_scale_f64 v[15:16], vcc_lo, v[6:7], v[2:3], v[6:7]
	v_mul_f64 v[17:18], v[15:16], v[10:11]
	v_fma_f64 v[8:9], -v[8:9], v[17:18], v[15:16]
	v_div_fmas_f64 v[8:9], v[8:9], v[10:11], v[17:18]
                                        ; implicit-def: $vgpr10_vgpr11
	v_div_fixup_f64 v[8:9], v[8:9], v[2:3], v[6:7]
                                        ; implicit-def: $vgpr2_vgpr3
                                        ; implicit-def: $vgpr6_vgpr7
.LBB8_1498:
	s_andn2_saveexec_b32 s0, s0
	s_cbranch_execz .LBB8_1500
; %bb.1499:
	v_cmp_gt_f64_e64 s13, 0x10000000, |v[2:3]|
	v_mul_f64 v[10:11], v[10:11], -0.5
	v_cndmask_b32_e64 v8, 0, 0x100, s13
	v_cndmask_b32_e64 v13, 0, 0xffffff80, s13
	v_mul_f64 v[6:7], v[6:7], v[10:11]
	v_ldexp_f64 v[2:3], |v[2:3]|, v8
	v_rsq_f64_e32 v[8:9], v[2:3]
	v_cmp_class_f64_e64 vcc_lo, v[2:3], 0x260
	v_mul_f64 v[15:16], v[2:3], v[8:9]
	v_mul_f64 v[8:9], v[8:9], 0.5
	v_fma_f64 v[17:18], -v[8:9], v[15:16], 0.5
	v_fma_f64 v[15:16], v[15:16], v[17:18], v[15:16]
	v_fma_f64 v[8:9], v[8:9], v[17:18], v[8:9]
	v_fma_f64 v[17:18], -v[15:16], v[15:16], v[2:3]
	v_fma_f64 v[15:16], v[17:18], v[8:9], v[15:16]
	v_fma_f64 v[17:18], -v[15:16], v[15:16], v[2:3]
	v_fma_f64 v[8:9], v[17:18], v[8:9], v[15:16]
	v_ldexp_f64 v[8:9], v[8:9], v13
	v_cndmask_b32_e32 v3, v9, v3, vcc_lo
	v_cndmask_b32_e32 v2, v8, v2, vcc_lo
	v_div_scale_f64 v[8:9], null, v[2:3], v[2:3], v[6:7]
	v_rcp_f64_e32 v[10:11], v[8:9]
	v_fma_f64 v[15:16], -v[8:9], v[10:11], 1.0
	v_fma_f64 v[10:11], v[10:11], v[15:16], v[10:11]
	v_fma_f64 v[15:16], -v[8:9], v[10:11], 1.0
	v_fma_f64 v[10:11], v[10:11], v[15:16], v[10:11]
	v_div_scale_f64 v[15:16], vcc_lo, v[6:7], v[2:3], v[6:7]
	v_mul_f64 v[17:18], v[15:16], v[10:11]
	v_fma_f64 v[8:9], -v[8:9], v[17:18], v[15:16]
	v_div_fmas_f64 v[8:9], v[8:9], v[10:11], v[17:18]
	v_div_fixup_f64 v[8:9], v[8:9], v[2:3], v[6:7]
.LBB8_1500:
	s_or_b32 exec_lo, exec_lo, s0
.LBB8_1501:
	s_or_b32 exec_lo, exec_lo, s12
	v_add_nc_u32_e32 v2, s3, v12
	s_cmp_lt_i32 s5, 11
	v_ashrrev_i32_e32 v3, 31, v2
	v_add_co_u32 v6, vcc_lo, s10, v2
	v_add_co_ci_u32_e64 v7, null, s11, v3, vcc_lo
	s_cbranch_scc1 .LBB8_1508
; %bb.1502:
	s_cmp_gt_i32 s5, 25
	s_mov_b32 s3, 0
	s_cbranch_scc0 .LBB8_1509
; %bb.1503:
	s_cmp_gt_i32 s5, 28
	s_cbranch_scc0 .LBB8_1510
; %bb.1504:
	s_cmp_gt_i32 s5, 43
	;; [unrolled: 3-line block ×3, first 2 shown]
	s_cbranch_scc0 .LBB8_1513
; %bb.1506:
	s_cmp_eq_u32 s5, 46
	s_mov_b32 s11, 0
	s_cbranch_scc0 .LBB8_1514
; %bb.1507:
	global_load_dword v2, v[6:7], off
	s_mov_b32 s0, 0
	s_mov_b32 s10, -1
	s_waitcnt vmcnt(0)
	v_lshlrev_b32_e32 v2, 16, v2
	v_cvt_f64_f32_e32 v[2:3], v2
	s_branch .LBB8_1516
.LBB8_1508:
	s_mov_b32 s0, -1
	s_mov_b32 s10, 0
                                        ; implicit-def: $vgpr2_vgpr3
	s_branch .LBB8_1582
.LBB8_1509:
	s_mov_b32 s11, -1
	s_mov_b32 s10, 0
	s_mov_b32 s0, 0
                                        ; implicit-def: $vgpr2_vgpr3
	s_branch .LBB8_1547
.LBB8_1510:
	s_mov_b32 s11, -1
	s_mov_b32 s10, 0
	s_mov_b32 s0, 0
                                        ; implicit-def: $vgpr2_vgpr3
	s_branch .LBB8_1526
.LBB8_1511:
	s_mov_b32 s11, -1
	s_mov_b32 s10, 0
	s_mov_b32 s0, 0
                                        ; implicit-def: $vgpr2_vgpr3
	s_branch .LBB8_1521
.LBB8_1512:
	s_or_b32 s4, s4, exec_lo
	s_trap 2
	s_cbranch_execz .LBB8_1439
	s_branch .LBB8_1440
.LBB8_1513:
	s_mov_b32 s11, -1
	s_mov_b32 s10, 0
	s_mov_b32 s0, 0
	s_branch .LBB8_1515
.LBB8_1514:
	s_mov_b32 s0, -1
	s_mov_b32 s10, 0
.LBB8_1515:
                                        ; implicit-def: $vgpr2_vgpr3
.LBB8_1516:
	s_and_b32 vcc_lo, exec_lo, s11
	s_cbranch_vccz .LBB8_1520
; %bb.1517:
	s_cmp_eq_u32 s5, 44
	s_cbranch_scc0 .LBB8_1519
; %bb.1518:
	global_load_ubyte v10, v[6:7], off
	s_mov_b32 s0, 0
	s_mov_b32 s10, -1
	s_waitcnt vmcnt(0)
	v_lshlrev_b32_e32 v2, 23, v10
	v_cmp_ne_u32_e32 vcc_lo, 0xff, v10
	v_cvt_f64_f32_e32 v[2:3], v2
	v_cndmask_b32_e32 v2, 0x20000000, v2, vcc_lo
	v_cndmask_b32_e32 v3, 0x7ff80000, v3, vcc_lo
	v_cmp_ne_u32_e32 vcc_lo, 0, v10
	v_cndmask_b32_e32 v3, 0x38000000, v3, vcc_lo
	v_cndmask_b32_e32 v2, 0, v2, vcc_lo
	s_branch .LBB8_1520
.LBB8_1519:
	s_mov_b32 s0, -1
                                        ; implicit-def: $vgpr2_vgpr3
.LBB8_1520:
	s_mov_b32 s11, 0
.LBB8_1521:
	s_and_b32 vcc_lo, exec_lo, s11
	s_cbranch_vccz .LBB8_1525
; %bb.1522:
	s_cmp_eq_u32 s5, 29
	s_cbranch_scc0 .LBB8_1524
; %bb.1523:
	global_load_dwordx2 v[2:3], v[6:7], off
	s_mov_b32 s0, 0
	s_mov_b32 s10, -1
	s_mov_b32 s11, 0
	s_waitcnt vmcnt(0)
	v_cvt_f64_u32_e32 v[10:11], v3
	v_cvt_f64_u32_e32 v[2:3], v2
	v_ldexp_f64 v[10:11], v[10:11], 32
	v_add_f64 v[2:3], v[10:11], v[2:3]
	s_branch .LBB8_1526
.LBB8_1524:
	s_mov_b32 s0, -1
                                        ; implicit-def: $vgpr2_vgpr3
.LBB8_1525:
	s_mov_b32 s11, 0
.LBB8_1526:
	s_and_b32 vcc_lo, exec_lo, s11
	s_cbranch_vccz .LBB8_1546
; %bb.1527:
	s_cmp_lt_i32 s5, 27
	s_cbranch_scc1 .LBB8_1530
; %bb.1528:
	s_cmp_gt_i32 s5, 27
	s_cbranch_scc0 .LBB8_1531
; %bb.1529:
	global_load_dword v2, v[6:7], off
	s_mov_b32 s10, 0
	s_waitcnt vmcnt(0)
	v_cvt_f64_u32_e32 v[2:3], v2
	s_branch .LBB8_1532
.LBB8_1530:
	s_mov_b32 s10, -1
                                        ; implicit-def: $vgpr2_vgpr3
	s_branch .LBB8_1535
.LBB8_1531:
	s_mov_b32 s10, -1
                                        ; implicit-def: $vgpr2_vgpr3
.LBB8_1532:
	s_andn2_b32 vcc_lo, exec_lo, s10
	s_cbranch_vccnz .LBB8_1534
; %bb.1533:
	global_load_ushort v2, v[6:7], off
	s_waitcnt vmcnt(0)
	v_cvt_f64_u32_e32 v[2:3], v2
.LBB8_1534:
	s_mov_b32 s10, 0
.LBB8_1535:
	s_andn2_b32 vcc_lo, exec_lo, s10
	s_cbranch_vccnz .LBB8_1545
; %bb.1536:
	global_load_ubyte v10, v[6:7], off
	s_mov_b32 s10, 0
	s_mov_b32 s11, exec_lo
	s_waitcnt vmcnt(0)
	v_cmpx_lt_i16_e32 0x7f, v10
	s_xor_b32 s11, exec_lo, s11
	s_cbranch_execz .LBB8_1540
; %bb.1537:
	s_mov_b32 s10, -1
	s_mov_b32 s12, exec_lo
	v_cmpx_eq_u16_e32 0x80, v10
; %bb.1538:
	s_xor_b32 s10, exec_lo, -1
; %bb.1539:
	s_or_b32 exec_lo, exec_lo, s12
	s_and_b32 s10, s10, exec_lo
.LBB8_1540:
	s_or_saveexec_b32 s11, s11
	v_bfrev_b32_e32 v2, 4
	v_mov_b32_e32 v3, 0x7ff80000
	s_xor_b32 exec_lo, exec_lo, s11
; %bb.1541:
	v_cmp_ne_u16_e32 vcc_lo, 0, v10
	v_mov_b32_e32 v2, 0
	v_mov_b32_e32 v3, 0
	s_andn2_b32 s10, s10, exec_lo
	s_and_b32 s12, vcc_lo, exec_lo
	s_or_b32 s10, s10, s12
; %bb.1542:
	s_or_b32 exec_lo, exec_lo, s11
	s_and_saveexec_b32 s11, s10
	s_cbranch_execz .LBB8_1544
; %bb.1543:
	v_and_b32_e32 v2, 0xffff, v10
	v_lshlrev_b32_e32 v10, 24, v10
	v_and_b32_e32 v3, 7, v2
	v_bfe_u32 v13, v2, 3, 4
	v_ffbh_u32_e32 v11, v3
	v_cmp_eq_u32_e32 vcc_lo, 0, v13
	v_min_u32_e32 v11, 32, v11
	v_subrev_nc_u32_e32 v12, 28, v11
	v_sub_nc_u32_e32 v11, 29, v11
	v_lshlrev_b32_e32 v2, v12, v2
	v_cndmask_b32_e32 v11, v13, v11, vcc_lo
	v_and_b32_e32 v2, 7, v2
	v_cndmask_b32_e32 v2, v3, v2, vcc_lo
	v_and_b32_e32 v3, 0x80000000, v10
	v_lshl_add_u32 v10, v11, 23, 0x3b800000
	v_lshlrev_b32_e32 v2, 20, v2
	v_or3_b32 v2, v3, v10, v2
	v_cvt_f64_f32_e32 v[2:3], v2
.LBB8_1544:
	s_or_b32 exec_lo, exec_lo, s11
.LBB8_1545:
	s_mov_b32 s10, -1
.LBB8_1546:
	s_mov_b32 s11, 0
.LBB8_1547:
	s_and_b32 vcc_lo, exec_lo, s11
	s_cbranch_vccz .LBB8_1578
; %bb.1548:
	s_cmp_gt_i32 s5, 22
	s_cbranch_scc0 .LBB8_1560
; %bb.1549:
	s_cmp_lt_i32 s5, 24
	s_cbranch_scc1 .LBB8_1561
; %bb.1550:
	s_cmp_gt_i32 s5, 24
	s_cbranch_scc0 .LBB8_1562
; %bb.1551:
	global_load_ubyte v10, v[6:7], off
	s_mov_b32 s10, exec_lo
	s_waitcnt vmcnt(0)
	v_cmpx_lt_i16_e32 0x7f, v10
	s_xor_b32 s10, exec_lo, s10
	s_cbranch_execz .LBB8_1555
; %bb.1552:
	s_mov_b32 s3, -1
	s_mov_b32 s11, exec_lo
	v_cmpx_eq_u16_e32 0x80, v10
; %bb.1553:
	s_xor_b32 s3, exec_lo, -1
; %bb.1554:
	s_or_b32 exec_lo, exec_lo, s11
	s_and_b32 s3, s3, exec_lo
.LBB8_1555:
	s_or_saveexec_b32 s10, s10
	v_bfrev_b32_e32 v2, 4
	v_mov_b32_e32 v3, 0x7ff80000
	s_xor_b32 exec_lo, exec_lo, s10
; %bb.1556:
	v_cmp_ne_u16_e32 vcc_lo, 0, v10
	v_mov_b32_e32 v2, 0
	v_mov_b32_e32 v3, 0
	s_andn2_b32 s3, s3, exec_lo
	s_and_b32 s11, vcc_lo, exec_lo
	s_or_b32 s3, s3, s11
; %bb.1557:
	s_or_b32 exec_lo, exec_lo, s10
	s_and_saveexec_b32 s10, s3
	s_cbranch_execz .LBB8_1559
; %bb.1558:
	v_and_b32_e32 v2, 0xffff, v10
	v_lshlrev_b32_e32 v10, 24, v10
	v_and_b32_e32 v3, 3, v2
	v_bfe_u32 v13, v2, 2, 5
	v_ffbh_u32_e32 v11, v3
	v_cmp_eq_u32_e32 vcc_lo, 0, v13
	v_min_u32_e32 v11, 32, v11
	v_subrev_nc_u32_e32 v12, 29, v11
	v_sub_nc_u32_e32 v11, 30, v11
	v_lshlrev_b32_e32 v2, v12, v2
	v_cndmask_b32_e32 v11, v13, v11, vcc_lo
	v_and_b32_e32 v2, 3, v2
	v_cndmask_b32_e32 v2, v3, v2, vcc_lo
	v_and_b32_e32 v3, 0x80000000, v10
	v_lshl_add_u32 v10, v11, 23, 0x37800000
	v_lshlrev_b32_e32 v2, 21, v2
	v_or3_b32 v2, v3, v10, v2
	v_cvt_f64_f32_e32 v[2:3], v2
.LBB8_1559:
	s_or_b32 exec_lo, exec_lo, s10
	s_mov_b32 s3, 0
	s_branch .LBB8_1563
.LBB8_1560:
	s_mov_b32 s3, -1
                                        ; implicit-def: $vgpr2_vgpr3
	s_branch .LBB8_1569
.LBB8_1561:
	s_mov_b32 s3, -1
                                        ; implicit-def: $vgpr2_vgpr3
	s_branch .LBB8_1566
.LBB8_1562:
	s_mov_b32 s3, -1
                                        ; implicit-def: $vgpr2_vgpr3
.LBB8_1563:
	s_and_b32 vcc_lo, exec_lo, s3
	s_cbranch_vccz .LBB8_1565
; %bb.1564:
	global_load_ubyte v2, v[6:7], off
	s_waitcnt vmcnt(0)
	v_lshlrev_b32_e32 v2, 24, v2
	v_and_b32_e32 v3, 0x7f000000, v2
	v_ffbh_u32_e32 v10, v3
	v_add_nc_u32_e32 v12, 0x1000000, v3
	v_cmp_ne_u32_e32 vcc_lo, 0, v3
	v_min_u32_e32 v10, 32, v10
	v_sub_nc_u32_e64 v10, v10, 4 clamp
	v_lshlrev_b32_e32 v11, v10, v3
	v_lshlrev_b32_e32 v10, 23, v10
	v_lshrrev_b32_e32 v11, 4, v11
	v_sub_nc_u32_e32 v10, v11, v10
	v_ashrrev_i32_e32 v11, 8, v12
	v_add_nc_u32_e32 v10, 0x3c000000, v10
	v_and_or_b32 v10, 0x7f800000, v11, v10
	v_cndmask_b32_e32 v3, 0, v10, vcc_lo
	v_and_or_b32 v2, 0x80000000, v2, v3
	v_cvt_f64_f32_e32 v[2:3], v2
.LBB8_1565:
	s_mov_b32 s3, 0
.LBB8_1566:
	s_andn2_b32 vcc_lo, exec_lo, s3
	s_cbranch_vccnz .LBB8_1568
; %bb.1567:
	global_load_ubyte v2, v[6:7], off
	s_waitcnt vmcnt(0)
	v_lshlrev_b32_e32 v3, 25, v2
	v_lshlrev_b16 v2, 8, v2
	v_lshrrev_b32_e32 v10, 4, v3
	v_and_or_b32 v11, 0x7f00, v2, 0.5
	v_cmp_gt_u32_e32 vcc_lo, 0x8000000, v3
	v_bfe_i32 v2, v2, 0, 16
	v_or_b32_e32 v10, 0x70000000, v10
	v_add_f32_e32 v11, -0.5, v11
	v_mul_f32_e32 v10, 0x7800000, v10
	v_cndmask_b32_e32 v3, v10, v11, vcc_lo
	v_and_or_b32 v2, 0x80000000, v2, v3
	v_cvt_f64_f32_e32 v[2:3], v2
.LBB8_1568:
	s_mov_b32 s3, 0
	s_mov_b32 s10, -1
.LBB8_1569:
	s_andn2_b32 vcc_lo, exec_lo, s3
	s_mov_b32 s3, 0
	s_cbranch_vccnz .LBB8_1578
; %bb.1570:
	s_cmp_gt_i32 s5, 14
	s_cbranch_scc0 .LBB8_1573
; %bb.1571:
	s_cmp_eq_u32 s5, 15
	s_cbranch_scc0 .LBB8_1574
; %bb.1572:
	global_load_ushort v2, v[6:7], off
	s_mov_b32 s0, 0
	s_mov_b32 s10, -1
	s_waitcnt vmcnt(0)
	v_lshlrev_b32_e32 v2, 16, v2
	v_cvt_f64_f32_e32 v[2:3], v2
	s_branch .LBB8_1576
.LBB8_1573:
	s_mov_b32 s3, -1
	s_branch .LBB8_1575
.LBB8_1574:
	s_mov_b32 s0, -1
.LBB8_1575:
                                        ; implicit-def: $vgpr2_vgpr3
.LBB8_1576:
	s_and_b32 vcc_lo, exec_lo, s3
	s_mov_b32 s3, 0
	s_cbranch_vccz .LBB8_1578
; %bb.1577:
	s_cmp_lg_u32 s5, 11
	s_mov_b32 s3, -1
	s_cselect_b32 s0, -1, 0
.LBB8_1578:
	s_and_b32 vcc_lo, exec_lo, s0
	s_cbranch_vccnz .LBB8_2124
; %bb.1579:
	s_andn2_b32 vcc_lo, exec_lo, s3
	s_cbranch_vccnz .LBB8_1581
.LBB8_1580:
	global_load_ubyte v2, v[6:7], off
	s_mov_b32 s10, -1
	s_waitcnt vmcnt(0)
	v_cmp_ne_u16_e32 vcc_lo, 0, v2
	v_mov_b32_e32 v2, 0
	v_cndmask_b32_e64 v3, 0, 0x3ff00000, vcc_lo
.LBB8_1581:
	s_mov_b32 s0, 0
.LBB8_1582:
	s_and_b32 vcc_lo, exec_lo, s0
	s_cbranch_vccz .LBB8_1631
; %bb.1583:
	s_cmp_lt_i32 s5, 5
	s_cbranch_scc1 .LBB8_1588
; %bb.1584:
	s_cmp_lt_i32 s5, 8
	s_cbranch_scc1 .LBB8_1589
	;; [unrolled: 3-line block ×3, first 2 shown]
; %bb.1586:
	s_cmp_gt_i32 s5, 9
	s_cbranch_scc0 .LBB8_1591
; %bb.1587:
	global_load_dwordx2 v[2:3], v[6:7], off
	s_mov_b32 s0, 0
	s_branch .LBB8_1592
.LBB8_1588:
	s_mov_b32 s0, -1
                                        ; implicit-def: $vgpr2_vgpr3
	s_branch .LBB8_1610
.LBB8_1589:
	s_mov_b32 s0, -1
                                        ; implicit-def: $vgpr2_vgpr3
	s_branch .LBB8_1598
.LBB8_1590:
	s_mov_b32 s0, -1
                                        ; implicit-def: $vgpr2_vgpr3
	s_branch .LBB8_1595
.LBB8_1591:
	s_mov_b32 s0, -1
                                        ; implicit-def: $vgpr2_vgpr3
.LBB8_1592:
	s_andn2_b32 vcc_lo, exec_lo, s0
	s_cbranch_vccnz .LBB8_1594
; %bb.1593:
	global_load_dword v2, v[6:7], off
	s_waitcnt vmcnt(0)
	v_cvt_f64_f32_e32 v[2:3], v2
.LBB8_1594:
	s_mov_b32 s0, 0
.LBB8_1595:
	s_andn2_b32 vcc_lo, exec_lo, s0
	s_cbranch_vccnz .LBB8_1597
; %bb.1596:
	global_load_dword v2, v[6:7], off
	s_waitcnt vmcnt(0)
	v_cvt_f32_f16_e32 v2, v2
	v_cvt_f64_f32_e32 v[2:3], v2
.LBB8_1597:
	s_mov_b32 s0, 0
.LBB8_1598:
	s_andn2_b32 vcc_lo, exec_lo, s0
	s_cbranch_vccnz .LBB8_1609
; %bb.1599:
	s_cmp_lt_i32 s5, 6
	s_cbranch_scc1 .LBB8_1602
; %bb.1600:
	s_cmp_gt_i32 s5, 6
	s_cbranch_scc0 .LBB8_1603
; %bb.1601:
	global_load_dwordx2 v[2:3], v[6:7], off
	s_mov_b32 s0, 0
	s_branch .LBB8_1604
.LBB8_1602:
	s_mov_b32 s0, -1
                                        ; implicit-def: $vgpr2_vgpr3
	s_branch .LBB8_1607
.LBB8_1603:
	s_mov_b32 s0, -1
                                        ; implicit-def: $vgpr2_vgpr3
.LBB8_1604:
	s_andn2_b32 vcc_lo, exec_lo, s0
	s_cbranch_vccnz .LBB8_1606
; %bb.1605:
	global_load_dword v2, v[6:7], off
	s_waitcnt vmcnt(0)
	v_cvt_f64_f32_e32 v[2:3], v2
.LBB8_1606:
	s_mov_b32 s0, 0
.LBB8_1607:
	s_andn2_b32 vcc_lo, exec_lo, s0
	s_cbranch_vccnz .LBB8_1609
; %bb.1608:
	global_load_ushort v2, v[6:7], off
	s_waitcnt vmcnt(0)
	v_cvt_f32_f16_e32 v2, v2
	v_cvt_f64_f32_e32 v[2:3], v2
.LBB8_1609:
	s_mov_b32 s0, 0
.LBB8_1610:
	s_andn2_b32 vcc_lo, exec_lo, s0
	s_cbranch_vccnz .LBB8_1630
; %bb.1611:
	s_cmp_lt_i32 s5, 2
	s_cbranch_scc1 .LBB8_1615
; %bb.1612:
	s_cmp_lt_i32 s5, 3
	s_cbranch_scc1 .LBB8_1616
; %bb.1613:
	s_cmp_gt_i32 s5, 3
	s_cbranch_scc0 .LBB8_1617
; %bb.1614:
	global_load_dwordx2 v[2:3], v[6:7], off
	s_mov_b32 s0, 0
	s_waitcnt vmcnt(0)
	v_cvt_f64_i32_e32 v[10:11], v3
	v_cvt_f64_u32_e32 v[2:3], v2
	v_ldexp_f64 v[10:11], v[10:11], 32
	v_add_f64 v[2:3], v[10:11], v[2:3]
	s_branch .LBB8_1618
.LBB8_1615:
	s_mov_b32 s0, -1
                                        ; implicit-def: $vgpr2_vgpr3
	s_branch .LBB8_1624
.LBB8_1616:
	s_mov_b32 s0, -1
                                        ; implicit-def: $vgpr2_vgpr3
	s_branch .LBB8_1621
.LBB8_1617:
	s_mov_b32 s0, -1
                                        ; implicit-def: $vgpr2_vgpr3
.LBB8_1618:
	s_andn2_b32 vcc_lo, exec_lo, s0
	s_cbranch_vccnz .LBB8_1620
; %bb.1619:
	global_load_dword v2, v[6:7], off
	s_waitcnt vmcnt(0)
	v_cvt_f64_i32_e32 v[2:3], v2
.LBB8_1620:
	s_mov_b32 s0, 0
.LBB8_1621:
	s_andn2_b32 vcc_lo, exec_lo, s0
	s_cbranch_vccnz .LBB8_1623
; %bb.1622:
	global_load_sshort v2, v[6:7], off
	s_waitcnt vmcnt(0)
	v_cvt_f64_i32_e32 v[2:3], v2
.LBB8_1623:
	s_mov_b32 s0, 0
.LBB8_1624:
	s_andn2_b32 vcc_lo, exec_lo, s0
	s_cbranch_vccnz .LBB8_1630
; %bb.1625:
	s_cmp_gt_i32 s5, 0
	s_mov_b32 s0, 0
	s_cbranch_scc0 .LBB8_1627
; %bb.1626:
	global_load_sbyte v2, v[6:7], off
	s_waitcnt vmcnt(0)
	v_cvt_f64_i32_e32 v[2:3], v2
	s_branch .LBB8_1628
.LBB8_1627:
	s_mov_b32 s0, -1
                                        ; implicit-def: $vgpr2_vgpr3
.LBB8_1628:
	s_andn2_b32 vcc_lo, exec_lo, s0
	s_cbranch_vccnz .LBB8_1630
; %bb.1629:
	global_load_ubyte v2, v[6:7], off
	s_waitcnt vmcnt(0)
	v_cvt_f64_u32_e32 v[2:3], v2
.LBB8_1630:
	s_mov_b32 s10, -1
.LBB8_1631:
	s_andn2_b32 vcc_lo, exec_lo, s10
	s_cbranch_vccnz .LBB8_1722
; %bb.1632:
	s_waitcnt vmcnt(0)
	v_cmp_ge_f64_e64 s0, 0x40200000, |v[2:3]|
                                        ; implicit-def: $vgpr12_vgpr13
	s_and_saveexec_b32 s3, s0
	s_xor_b32 s0, exec_lo, s3
	s_cbranch_execz .LBB8_1638
; %bb.1633:
	v_fma_f64 v[6:7], |v[2:3]|, 0.5, -2.0
	s_mov_b32 s10, 0xc38a0576
	s_mov_b32 s11, 0xbc7857d0
	;; [unrolled: 1-line block ×4, first 2 shown]
	s_mov_b32 s3, exec_lo
	v_fma_f64 v[10:11], v[6:7], s[12:13], s[10:11]
	s_mov_b32 s13, 0xbc499f2a
	s_mov_b32 s10, 0xe593bfac
	s_mov_b32 s11, 0x3ca663e3
	v_fma_f64 v[12:13], v[6:7], v[10:11], s[12:13]
	s_mov_b32 s12, 0x3b39803f
	s_mov_b32 s13, 0xbc7abc9e
	v_add_f64 v[12:13], v[12:13], s[10:11]
	s_mov_b32 s10, 0x7e0d1573
	s_mov_b32 s11, 0xbcd3eaaa
	v_fma_f64 v[10:11], v[6:7], v[12:13], -v[10:11]
	v_add_f64 v[10:11], v[10:11], s[10:11]
	s_mov_b32 s10, 0x615290c
	s_mov_b32 s11, 0x3d011d7f
	v_fma_f64 v[12:13], v[6:7], v[10:11], -v[12:13]
	;; [unrolled: 4-line block ×20, first 2 shown]
	v_add_f64 v[12:13], v[12:13], s[10:11]
	s_mov_b32 s10, 0x652b82fe
	s_mov_b32 s11, 0x3ff71547
	v_mul_f64 v[15:16], |v[2:3]|, s[10:11]
	s_mov_b32 s10, 0x7913a26a
	s_mov_b32 s11, 0xbf85a29f
	v_fma_f64 v[10:11], v[6:7], v[12:13], -v[10:11]
	v_rndne_f64_e32 v[15:16], v[15:16]
	v_add_f64 v[10:11], v[10:11], s[10:11]
	s_mov_b32 s10, 0xfefa39ef
	s_mov_b32 s11, 0xbfe62e42
	v_fma_f64 v[17:18], v[15:16], s[10:11], |v[2:3]|
	s_mov_b32 s10, 0xe7bb2349
	s_mov_b32 s11, 0x3f9951e3
	v_fma_f64 v[12:13], v[6:7], v[10:11], -v[12:13]
	v_fma_f64 v[17:18], v[15:16], s[12:13], v[17:18]
	s_mov_b32 s12, 0x6a5dcb37
	s_mov_b32 s13, 0x3e5ade15
	v_cvt_i32_f64_e32 v15, v[15:16]
	v_add_f64 v[12:13], v[12:13], s[10:11]
	s_mov_b32 s10, 0xfca7ab0c
	s_mov_b32 s11, 0x3e928af3
	v_fma_f64 v[19:20], v[17:18], s[12:13], s[10:11]
	s_mov_b32 s10, 0x537c9ebc
	s_mov_b32 s12, 0x623fde64
	;; [unrolled: 1-line block ×4, first 2 shown]
	v_fma_f64 v[10:11], v[6:7], v[12:13], -v[10:11]
	v_fma_f64 v[19:20], v[17:18], v[19:20], s[12:13]
	s_mov_b32 s12, 0x14761f6e
	s_mov_b32 s13, 0x3f2a01a0
	v_add_f64 v[10:11], v[10:11], s[10:11]
	s_mov_b32 s10, 0x7c89e6b0
	s_mov_b32 s11, 0x3efa0199
	v_fma_f64 v[19:20], v[17:18], v[19:20], s[10:11]
	s_mov_b32 s10, 0xd536f53c
	s_mov_b32 s11, 0x3fba46da
	v_fma_f64 v[12:13], v[6:7], v[10:11], -v[12:13]
	v_fma_f64 v[19:20], v[17:18], v[19:20], s[12:13]
	s_mov_b32 s12, 0x11122322
	s_mov_b32 s13, 0x3f811111
	v_add_f64 v[12:13], v[12:13], s[10:11]
	s_mov_b32 s10, 0x1852b7b0
	s_mov_b32 s11, 0x3f56c16c
	v_fma_f64 v[19:20], v[17:18], v[19:20], s[10:11]
	s_mov_b32 s10, 0x469192e
	s_mov_b32 s11, 0xbfc694d1
	;; [unrolled: 10-line block ×3, first 2 shown]
	v_fma_f64 v[6:7], v[6:7], v[10:11], -v[12:13]
	v_fma_f64 v[10:11], v[17:18], v[19:20], s[12:13]
	v_add_f64 v[6:7], v[6:7], s[10:11]
	s_mov_b32 s10, 11
	s_mov_b32 s11, 0x3fe00000
	v_fma_f64 v[10:11], v[17:18], v[10:11], s[10:11]
	v_add_f64 v[6:7], v[6:7], -v[12:13]
                                        ; implicit-def: $vgpr12_vgpr13
	v_fma_f64 v[10:11], v[17:18], v[10:11], 1.0
	v_mul_f64 v[6:7], v[6:7], 0.5
	v_fma_f64 v[10:11], v[17:18], v[10:11], 1.0
	v_mul_f64 v[6:7], |v[2:3]|, v[6:7]
	v_cmpx_ngt_f64_e32 0, v[2:3]
	s_xor_b32 s3, exec_lo, s3
	s_cbranch_execz .LBB8_1635
; %bb.1634:
	v_ldexp_f64 v[10:11], v[10:11], v15
	v_cmp_nlt_f64_e64 vcc_lo, 0x40900000, |v[2:3]|
                                        ; implicit-def: $vgpr15
	v_cndmask_b32_e32 v3, 0x7ff00000, v11, vcc_lo
	v_cndmask_b32_e32 v2, 0, v10, vcc_lo
                                        ; implicit-def: $vgpr10_vgpr11
	v_mul_f64 v[12:13], v[2:3], v[6:7]
                                        ; implicit-def: $vgpr2_vgpr3
                                        ; implicit-def: $vgpr6_vgpr7
.LBB8_1635:
	s_andn2_saveexec_b32 s3, s3
	s_cbranch_execz .LBB8_1637
; %bb.1636:
	v_ldexp_f64 v[10:11], -v[10:11], v15
	v_cmp_nlt_f64_e64 vcc_lo, 0x40900000, |v[2:3]|
	v_cndmask_b32_e32 v3, 0xfff00000, v11, vcc_lo
	v_cndmask_b32_e32 v2, 0, v10, vcc_lo
	v_mul_f64 v[12:13], v[2:3], v[6:7]
.LBB8_1637:
	s_or_b32 exec_lo, exec_lo, s3
                                        ; implicit-def: $vgpr2_vgpr3
.LBB8_1638:
	s_andn2_saveexec_b32 s3, s0
	s_cbranch_execz .LBB8_1644
; %bb.1639:
	v_and_b32_e32 v7, 0x7fffffff, v3
	v_mov_b32_e32 v6, v2
	s_mov_b32 s10, 0xea87b950
	s_mov_b32 s11, 0x3c545b8a
	;; [unrolled: 1-line block ×4, first 2 shown]
	v_div_scale_f64 v[10:11], null, v[6:7], v[6:7], 0x40400000
	v_div_scale_f64 v[6:7], vcc_lo, 0x40400000, v[6:7], 0x40400000
	v_cmp_ngt_f64_e64 s0, 0, v[2:3]
	v_rcp_f64_e32 v[12:13], v[10:11]
	v_fma_f64 v[15:16], -v[10:11], v[12:13], 1.0
	v_fma_f64 v[12:13], v[12:13], v[15:16], v[12:13]
	v_fma_f64 v[15:16], -v[10:11], v[12:13], 1.0
	v_fma_f64 v[12:13], v[12:13], v[15:16], v[12:13]
	v_mul_f64 v[15:16], v[6:7], v[12:13]
	v_fma_f64 v[6:7], -v[10:11], v[15:16], v[6:7]
	v_div_fmas_f64 v[6:7], v[6:7], v[12:13], v[15:16]
	v_cmp_nlt_f64_e64 vcc_lo, 0x40900000, |v[2:3]|
	v_div_fixup_f64 v[6:7], v[6:7], |v[2:3]|, 0x40400000
	v_add_f64 v[6:7], v[6:7], -2.0
	v_fma_f64 v[10:11], v[6:7], s[12:13], s[10:11]
	s_mov_b32 s13, 0xbc61556d
	s_mov_b32 s10, 0xb2532277
	;; [unrolled: 1-line block ×3, first 2 shown]
	v_fma_f64 v[12:13], v[6:7], v[10:11], s[12:13]
	s_mov_b32 s12, 0x6a5dcb37
	s_mov_b32 s13, 0x3e5ade15
	v_add_f64 v[12:13], v[12:13], s[10:11]
	s_mov_b32 s10, 0x9c773320
	s_mov_b32 s11, 0xbc82806c
	v_fma_f64 v[10:11], v[6:7], v[12:13], -v[10:11]
	v_add_f64 v[10:11], v[10:11], s[10:11]
	s_mov_b32 s10, 0xfceb588a
	s_mov_b32 s11, 0x3cb55915
	v_fma_f64 v[12:13], v[6:7], v[10:11], -v[12:13]
	;; [unrolled: 4-line block ×14, first 2 shown]
	v_add_f64 v[12:13], v[12:13], s[10:11]
	s_mov_b32 s10, 0x652b82fe
	s_mov_b32 s11, 0x3ff71547
	v_mul_f64 v[15:16], |v[2:3]|, s[10:11]
	s_mov_b32 s10, 0x5423dd80
	s_mov_b32 s11, 0xbe0334ca
	v_fma_f64 v[10:11], v[6:7], v[12:13], -v[10:11]
	v_rndne_f64_e32 v[15:16], v[15:16]
	v_add_f64 v[10:11], v[10:11], s[10:11]
	s_mov_b32 s10, 0xfefa39ef
	s_mov_b32 s11, 0xbfe62e42
	v_fma_f64 v[17:18], v[15:16], s[10:11], |v[2:3]|
	s_mov_b32 s10, 0x9ad53528
	s_mov_b32 s11, 0xbe30790b
	v_fma_f64 v[12:13], v[6:7], v[10:11], -v[12:13]
	v_add_f64 v[12:13], v[12:13], s[10:11]
	s_mov_b32 s10, 0x3b39803f
	s_mov_b32 s11, 0xbc7abc9e
	v_fma_f64 v[17:18], v[15:16], s[10:11], v[17:18]
	s_mov_b32 s10, 0xfca7ab0c
	s_mov_b32 s11, 0x3e928af3
	v_cvt_i32_f64_e32 v15, v[15:16]
	v_fma_f64 v[10:11], v[6:7], v[12:13], -v[10:11]
	v_fma_f64 v[19:20], v[17:18], s[12:13], s[10:11]
	s_mov_b32 s10, 0x94bb46c1
	s_mov_b32 s11, 0xbe5c4153
	v_add_f64 v[10:11], v[10:11], s[10:11]
	s_mov_b32 s10, 0x623fde64
	s_mov_b32 s11, 0x3ec71dee
	v_fma_f64 v[19:20], v[17:18], v[19:20], s[10:11]
	s_mov_b32 s10, 0x7c89e6b0
	s_mov_b32 s11, 0x3efa0199
	v_fma_f64 v[12:13], v[6:7], v[10:11], -v[12:13]
	v_fma_f64 v[19:20], v[17:18], v[19:20], s[10:11]
	s_mov_b32 s10, 0x2e9e5443
	s_mov_b32 s11, 0xbe90dbfd
	v_add_f64 v[12:13], v[12:13], s[10:11]
	s_mov_b32 s10, 0x14761f6e
	s_mov_b32 s11, 0x3f2a01a0
	v_fma_f64 v[19:20], v[17:18], v[19:20], s[10:11]
	s_mov_b32 s10, 0x1852b7b0
	s_mov_b32 s11, 0x3f56c16c
	;; [unrolled: 10-line block ×4, first 2 shown]
	v_fma_f64 v[10:11], v[6:7], v[12:13], -v[10:11]
	v_fma_f64 v[19:20], v[17:18], v[19:20], s[10:11]
	s_mov_b32 s10, 0x53fcdb4c
	s_mov_b32 s11, 0xbf83fda0
	v_add_f64 v[10:11], v[10:11], s[10:11]
	s_mov_b32 s10, 0xb55b1514
	s_mov_b32 s11, 0x3fe8ea18
	v_fma_f64 v[19:20], v[17:18], v[19:20], 1.0
	v_fma_f64 v[6:7], v[6:7], v[10:11], -v[12:13]
	v_fma_f64 v[10:11], v[17:18], v[19:20], 1.0
	v_add_f64 v[6:7], v[6:7], s[10:11]
	v_ldexp_f64 v[15:16], v[10:11], v15
	v_add_f64 v[10:11], v[6:7], -v[12:13]
                                        ; implicit-def: $vgpr12_vgpr13
	v_cndmask_b32_e32 v7, 0x7ff00000, v16, vcc_lo
	v_cndmask_b32_e32 v6, 0, v15, vcc_lo
	s_and_saveexec_b32 s5, s0
	s_xor_b32 s0, exec_lo, s5
	s_cbranch_execz .LBB8_1641
; %bb.1640:
	v_cmp_gt_f64_e64 s5, 0x10000000, |v[2:3]|
	v_mul_f64 v[10:11], v[10:11], 0.5
	v_cndmask_b32_e64 v12, 0, 0x100, s5
	v_mul_f64 v[6:7], v[6:7], v[10:11]
	v_ldexp_f64 v[2:3], |v[2:3]|, v12
	v_rsq_f64_e32 v[12:13], v[2:3]
	v_cmp_class_f64_e64 vcc_lo, v[2:3], 0x260
	v_mul_f64 v[15:16], v[2:3], v[12:13]
	v_mul_f64 v[12:13], v[12:13], 0.5
	v_fma_f64 v[17:18], -v[12:13], v[15:16], 0.5
	v_fma_f64 v[15:16], v[15:16], v[17:18], v[15:16]
	v_fma_f64 v[12:13], v[12:13], v[17:18], v[12:13]
	v_fma_f64 v[17:18], -v[15:16], v[15:16], v[2:3]
	v_fma_f64 v[15:16], v[17:18], v[12:13], v[15:16]
	v_fma_f64 v[17:18], -v[15:16], v[15:16], v[2:3]
	v_fma_f64 v[12:13], v[17:18], v[12:13], v[15:16]
	v_cndmask_b32_e64 v15, 0, 0xffffff80, s5
	v_ldexp_f64 v[12:13], v[12:13], v15
	v_cndmask_b32_e32 v3, v13, v3, vcc_lo
	v_cndmask_b32_e32 v2, v12, v2, vcc_lo
	v_div_scale_f64 v[10:11], null, v[2:3], v[2:3], v[6:7]
	v_rcp_f64_e32 v[12:13], v[10:11]
	v_fma_f64 v[15:16], -v[10:11], v[12:13], 1.0
	v_fma_f64 v[12:13], v[12:13], v[15:16], v[12:13]
	v_fma_f64 v[15:16], -v[10:11], v[12:13], 1.0
	v_fma_f64 v[12:13], v[12:13], v[15:16], v[12:13]
	v_div_scale_f64 v[15:16], vcc_lo, v[6:7], v[2:3], v[6:7]
	v_mul_f64 v[17:18], v[15:16], v[12:13]
	v_fma_f64 v[10:11], -v[10:11], v[17:18], v[15:16]
	v_div_fmas_f64 v[10:11], v[10:11], v[12:13], v[17:18]
	v_div_fixup_f64 v[12:13], v[10:11], v[2:3], v[6:7]
                                        ; implicit-def: $vgpr2_vgpr3
                                        ; implicit-def: $vgpr10_vgpr11
                                        ; implicit-def: $vgpr6_vgpr7
.LBB8_1641:
	s_andn2_saveexec_b32 s0, s0
	s_cbranch_execz .LBB8_1643
; %bb.1642:
	v_cmp_gt_f64_e64 s5, 0x10000000, |v[2:3]|
	v_mul_f64 v[10:11], v[10:11], -0.5
	v_cndmask_b32_e64 v12, 0, 0x100, s5
	v_mul_f64 v[6:7], v[6:7], v[10:11]
	v_ldexp_f64 v[2:3], |v[2:3]|, v12
	v_rsq_f64_e32 v[12:13], v[2:3]
	v_cmp_class_f64_e64 vcc_lo, v[2:3], 0x260
	v_mul_f64 v[15:16], v[2:3], v[12:13]
	v_mul_f64 v[12:13], v[12:13], 0.5
	v_fma_f64 v[17:18], -v[12:13], v[15:16], 0.5
	v_fma_f64 v[15:16], v[15:16], v[17:18], v[15:16]
	v_fma_f64 v[12:13], v[12:13], v[17:18], v[12:13]
	v_fma_f64 v[17:18], -v[15:16], v[15:16], v[2:3]
	v_fma_f64 v[15:16], v[17:18], v[12:13], v[15:16]
	v_fma_f64 v[17:18], -v[15:16], v[15:16], v[2:3]
	v_fma_f64 v[12:13], v[17:18], v[12:13], v[15:16]
	v_cndmask_b32_e64 v15, 0, 0xffffff80, s5
	v_ldexp_f64 v[12:13], v[12:13], v15
	v_cndmask_b32_e32 v3, v13, v3, vcc_lo
	v_cndmask_b32_e32 v2, v12, v2, vcc_lo
	v_div_scale_f64 v[10:11], null, v[2:3], v[2:3], v[6:7]
	v_rcp_f64_e32 v[12:13], v[10:11]
	v_fma_f64 v[15:16], -v[10:11], v[12:13], 1.0
	v_fma_f64 v[12:13], v[12:13], v[15:16], v[12:13]
	v_fma_f64 v[15:16], -v[10:11], v[12:13], 1.0
	v_fma_f64 v[12:13], v[12:13], v[15:16], v[12:13]
	v_div_scale_f64 v[15:16], vcc_lo, v[6:7], v[2:3], v[6:7]
	v_mul_f64 v[17:18], v[15:16], v[12:13]
	v_fma_f64 v[10:11], -v[10:11], v[17:18], v[15:16]
	v_div_fmas_f64 v[10:11], v[10:11], v[12:13], v[17:18]
	v_div_fixup_f64 v[12:13], v[10:11], v[2:3], v[6:7]
.LBB8_1643:
	s_or_b32 exec_lo, exec_lo, s0
.LBB8_1644:
	s_or_b32 exec_lo, exec_lo, s3
	v_mul_lo_u32 v10, s2, v14
	s_and_b32 s12, s1, 0xff
	s_cmp_lt_i32 s12, 11
	v_ashrrev_i32_e32 v2, 31, v10
	v_add_co_u32 v6, vcc_lo, s8, v10
	v_add_co_ci_u32_e64 v7, null, s9, v2, vcc_lo
	s_cbranch_scc1 .LBB8_1767
; %bb.1645:
	s_and_b32 s1, 0xffff, s12
	s_mov_b32 s10, -1
	s_mov_b32 s3, 0
	s_cmp_gt_i32 s1, 25
	s_mov_b32 s5, 0
	s_mov_b32 s0, 0
	s_cbranch_scc0 .LBB8_1678
; %bb.1646:
	s_cmp_gt_i32 s1, 28
	s_cbranch_scc0 .LBB8_1661
; %bb.1647:
	s_cmp_gt_i32 s1, 43
	;; [unrolled: 3-line block ×3, first 2 shown]
	s_cbranch_scc0 .LBB8_1651
; %bb.1649:
	s_mov_b32 s0, -1
	s_mov_b32 s10, 0
	s_cmp_eq_u32 s1, 46
	s_cbranch_scc0 .LBB8_1651
; %bb.1650:
	v_cvt_f32_f64_e32 v2, v[0:1]
	s_mov_b32 s0, 0
	s_mov_b32 s5, -1
	v_bfe_u32 v3, v2, 16, 1
	v_cmp_o_f32_e32 vcc_lo, v2, v2
	v_add3_u32 v2, v2, v3, 0x7fff
	v_mov_b32_e32 v3, 0x7fc0
	v_cndmask_b32_sdwa v2, v3, v2, vcc_lo dst_sel:DWORD dst_unused:UNUSED_PAD src0_sel:DWORD src1_sel:WORD_1
	global_store_dword v[6:7], v2, off
.LBB8_1651:
	s_and_b32 vcc_lo, exec_lo, s10
	s_cbranch_vccz .LBB8_1656
; %bb.1652:
	s_cmp_eq_u32 s1, 44
	s_mov_b32 s0, -1
	s_cbranch_scc0 .LBB8_1656
; %bb.1653:
	v_cvt_f32_f64_e32 v2, v[0:1]
	v_mov_b32_e32 v3, 0xff
	s_mov_b32 s5, exec_lo
	v_bfe_u32 v11, v2, 23, 8
	v_cmpx_ne_u32_e32 0xff, v11
	s_cbranch_execz .LBB8_1655
; %bb.1654:
	v_and_b32_e32 v3, 0x400000, v2
	v_and_or_b32 v11, 0x3fffff, v2, v11
	v_lshrrev_b32_e32 v2, 23, v2
	v_cmp_ne_u32_e32 vcc_lo, 0, v3
	v_cmp_ne_u32_e64 s0, 0, v11
	s_and_b32 s0, vcc_lo, s0
	v_cndmask_b32_e64 v3, 0, 1, s0
	v_add_nc_u32_e32 v3, v2, v3
.LBB8_1655:
	s_or_b32 exec_lo, exec_lo, s5
	s_mov_b32 s0, 0
	s_mov_b32 s5, -1
	global_store_byte v[6:7], v3, off
.LBB8_1656:
	s_mov_b32 s10, 0
.LBB8_1657:
	s_and_b32 vcc_lo, exec_lo, s10
	s_cbranch_vccz .LBB8_1660
; %bb.1658:
	s_cmp_eq_u32 s1, 29
	s_mov_b32 s0, -1
	s_cbranch_scc0 .LBB8_1660
; %bb.1659:
	v_trunc_f64_e32 v[2:3], v[0:1]
	s_mov_b32 s0, 0
	s_mov_b32 s5, -1
	v_ldexp_f64 v[14:15], v[2:3], 0xffffffe0
	v_floor_f64_e32 v[14:15], v[14:15]
	v_fma_f64 v[2:3], 0xc1f00000, v[14:15], v[2:3]
	v_cvt_u32_f64_e32 v15, v[14:15]
	v_cvt_u32_f64_e32 v14, v[2:3]
	global_store_dwordx2 v[6:7], v[14:15], off
.LBB8_1660:
	s_mov_b32 s10, 0
.LBB8_1661:
	s_and_b32 vcc_lo, exec_lo, s10
	s_cbranch_vccz .LBB8_1677
; %bb.1662:
	s_cmp_lt_i32 s1, 27
	s_mov_b32 s5, -1
	s_cbranch_scc1 .LBB8_1668
; %bb.1663:
	v_cvt_u32_f64_e32 v2, v[0:1]
	s_cmp_gt_i32 s1, 27
	s_cbranch_scc0 .LBB8_1665
; %bb.1664:
	s_mov_b32 s5, 0
	global_store_dword v[6:7], v2, off
.LBB8_1665:
	s_andn2_b32 vcc_lo, exec_lo, s5
	s_cbranch_vccnz .LBB8_1667
; %bb.1666:
	global_store_short v[6:7], v2, off
.LBB8_1667:
	s_mov_b32 s5, 0
.LBB8_1668:
	s_andn2_b32 vcc_lo, exec_lo, s5
	s_cbranch_vccnz .LBB8_1676
; %bb.1669:
	v_cvt_f32_f64_e32 v2, v[0:1]
	v_mov_b32_e32 v11, 0x80
	s_mov_b32 s5, exec_lo
	v_and_b32_e32 v3, 0x7fffffff, v2
	v_cmpx_gt_u32_e32 0x43800000, v3
	s_cbranch_execz .LBB8_1675
; %bb.1670:
	v_cmp_lt_u32_e32 vcc_lo, 0x3bffffff, v3
	s_mov_b32 s10, 0
                                        ; implicit-def: $vgpr3
	s_and_saveexec_b32 s11, vcc_lo
	s_xor_b32 s11, exec_lo, s11
	s_cbranch_execz .LBB8_2125
; %bb.1671:
	v_bfe_u32 v3, v2, 20, 1
	s_mov_b32 s10, exec_lo
	v_add3_u32 v3, v2, v3, 0x487ffff
	v_lshrrev_b32_e32 v3, 20, v3
	s_andn2_saveexec_b32 s11, s11
	s_cbranch_execnz .LBB8_2126
.LBB8_1672:
	s_or_b32 exec_lo, exec_lo, s11
	v_mov_b32_e32 v11, 0
	s_and_saveexec_b32 s11, s10
.LBB8_1673:
	v_lshrrev_b32_e32 v2, 24, v2
	v_and_or_b32 v11, 0x80, v2, v3
.LBB8_1674:
	s_or_b32 exec_lo, exec_lo, s11
.LBB8_1675:
	s_or_b32 exec_lo, exec_lo, s5
	global_store_byte v[6:7], v11, off
.LBB8_1676:
	s_mov_b32 s5, -1
.LBB8_1677:
	s_mov_b32 s10, 0
.LBB8_1678:
	s_and_b32 vcc_lo, exec_lo, s10
	s_cbranch_vccz .LBB8_1718
; %bb.1679:
	s_cmp_gt_i32 s1, 22
	s_mov_b32 s3, -1
	s_cbranch_scc0 .LBB8_1711
; %bb.1680:
	s_cmp_lt_i32 s1, 24
	s_cbranch_scc1 .LBB8_1700
; %bb.1681:
	s_cmp_gt_i32 s1, 24
	s_cbranch_scc0 .LBB8_1689
; %bb.1682:
	v_cvt_f32_f64_e32 v2, v[0:1]
	v_mov_b32_e32 v11, 0x80
	s_mov_b32 s3, exec_lo
	v_and_b32_e32 v3, 0x7fffffff, v2
	v_cmpx_gt_u32_e32 0x47800000, v3
	s_cbranch_execz .LBB8_1688
; %bb.1683:
	v_cmp_lt_u32_e32 vcc_lo, 0x37ffffff, v3
	s_mov_b32 s5, 0
                                        ; implicit-def: $vgpr3
	s_and_saveexec_b32 s10, vcc_lo
	s_xor_b32 s10, exec_lo, s10
	s_cbranch_execz .LBB8_2128
; %bb.1684:
	v_bfe_u32 v3, v2, 21, 1
	s_mov_b32 s5, exec_lo
	v_add3_u32 v3, v2, v3, 0x88fffff
	v_lshrrev_b32_e32 v3, 21, v3
	s_andn2_saveexec_b32 s10, s10
	s_cbranch_execnz .LBB8_2129
.LBB8_1685:
	s_or_b32 exec_lo, exec_lo, s10
	v_mov_b32_e32 v11, 0
	s_and_saveexec_b32 s10, s5
.LBB8_1686:
	v_lshrrev_b32_e32 v2, 24, v2
	v_and_or_b32 v11, 0x80, v2, v3
.LBB8_1687:
	s_or_b32 exec_lo, exec_lo, s10
.LBB8_1688:
	s_or_b32 exec_lo, exec_lo, s3
	s_mov_b32 s3, 0
	global_store_byte v[6:7], v11, off
.LBB8_1689:
	s_and_b32 vcc_lo, exec_lo, s3
	s_cbranch_vccz .LBB8_1699
; %bb.1690:
	v_cvt_f32_f64_e32 v2, v[0:1]
	s_mov_b32 s3, exec_lo
                                        ; implicit-def: $vgpr3
	v_and_b32_e32 v11, 0x7fffffff, v2
	v_cmpx_gt_u32_e32 0x43f00000, v11
	s_xor_b32 s3, exec_lo, s3
	s_cbranch_execz .LBB8_1696
; %bb.1691:
	s_mov_b32 s5, exec_lo
                                        ; implicit-def: $vgpr3
	v_cmpx_lt_u32_e32 0x3c7fffff, v11
	s_xor_b32 s5, exec_lo, s5
; %bb.1692:
	v_bfe_u32 v3, v2, 20, 1
	v_add3_u32 v3, v2, v3, 0x407ffff
	v_and_b32_e32 v11, 0xff00000, v3
	v_lshrrev_b32_e32 v3, 20, v3
	v_cmp_ne_u32_e32 vcc_lo, 0x7f00000, v11
	v_cndmask_b32_e32 v3, 0x7e, v3, vcc_lo
; %bb.1693:
	s_andn2_saveexec_b32 s5, s5
; %bb.1694:
	v_add_f32_e64 v3, 0x46800000, |v2|
; %bb.1695:
	s_or_b32 exec_lo, exec_lo, s5
                                        ; implicit-def: $vgpr11
.LBB8_1696:
	s_andn2_saveexec_b32 s3, s3
; %bb.1697:
	v_mov_b32_e32 v3, 0x7f
	v_cmp_lt_u32_e32 vcc_lo, 0x7f800000, v11
	v_cndmask_b32_e32 v3, 0x7e, v3, vcc_lo
; %bb.1698:
	s_or_b32 exec_lo, exec_lo, s3
	v_lshrrev_b32_e32 v2, 24, v2
	v_and_or_b32 v2, 0x80, v2, v3
	global_store_byte v[6:7], v2, off
.LBB8_1699:
	s_mov_b32 s3, 0
.LBB8_1700:
	s_andn2_b32 vcc_lo, exec_lo, s3
	s_cbranch_vccnz .LBB8_1710
; %bb.1701:
	v_cvt_f32_f64_e32 v2, v[0:1]
	s_mov_b32 s3, exec_lo
                                        ; implicit-def: $vgpr3
	v_and_b32_e32 v11, 0x7fffffff, v2
	v_cmpx_gt_u32_e32 0x47800000, v11
	s_xor_b32 s3, exec_lo, s3
	s_cbranch_execz .LBB8_1707
; %bb.1702:
	s_mov_b32 s5, exec_lo
                                        ; implicit-def: $vgpr3
	v_cmpx_lt_u32_e32 0x387fffff, v11
	s_xor_b32 s5, exec_lo, s5
; %bb.1703:
	v_bfe_u32 v3, v2, 21, 1
	v_add3_u32 v3, v2, v3, 0x80fffff
	v_lshrrev_b32_e32 v3, 21, v3
; %bb.1704:
	s_andn2_saveexec_b32 s5, s5
; %bb.1705:
	v_add_f32_e64 v3, 0x43000000, |v2|
; %bb.1706:
	s_or_b32 exec_lo, exec_lo, s5
                                        ; implicit-def: $vgpr11
.LBB8_1707:
	s_andn2_saveexec_b32 s3, s3
; %bb.1708:
	v_mov_b32_e32 v3, 0x7f
	v_cmp_lt_u32_e32 vcc_lo, 0x7f800000, v11
	v_cndmask_b32_e32 v3, 0x7c, v3, vcc_lo
; %bb.1709:
	s_or_b32 exec_lo, exec_lo, s3
	v_lshrrev_b32_e32 v2, 24, v2
	v_and_or_b32 v2, 0x80, v2, v3
	global_store_byte v[6:7], v2, off
.LBB8_1710:
	s_mov_b32 s3, 0
	s_mov_b32 s5, -1
.LBB8_1711:
	s_andn2_b32 vcc_lo, exec_lo, s3
	s_mov_b32 s3, 0
	s_cbranch_vccnz .LBB8_1718
; %bb.1712:
	s_cmp_gt_i32 s1, 14
	s_mov_b32 s3, -1
	s_cbranch_scc0 .LBB8_1716
; %bb.1713:
	s_cmp_eq_u32 s1, 15
	s_mov_b32 s0, -1
	s_cbranch_scc0 .LBB8_1715
; %bb.1714:
	v_cvt_f32_f64_e32 v2, v[0:1]
	s_mov_b32 s0, 0
	s_mov_b32 s5, -1
	v_bfe_u32 v3, v2, 16, 1
	v_cmp_o_f32_e32 vcc_lo, v2, v2
	v_add3_u32 v2, v2, v3, 0x7fff
	v_mov_b32_e32 v3, 0x7fc0
	v_cndmask_b32_sdwa v2, v3, v2, vcc_lo dst_sel:DWORD dst_unused:UNUSED_PAD src0_sel:DWORD src1_sel:WORD_1
	global_store_short v[6:7], v2, off
.LBB8_1715:
	s_mov_b32 s3, 0
.LBB8_1716:
	s_and_b32 vcc_lo, exec_lo, s3
	s_mov_b32 s3, 0
	s_cbranch_vccz .LBB8_1718
; %bb.1717:
	s_cmp_lg_u32 s1, 11
	s_mov_b32 s3, -1
	s_cselect_b32 s0, -1, 0
.LBB8_1718:
	s_and_b32 vcc_lo, exec_lo, s0
	s_cbranch_vccnz .LBB8_2127
; %bb.1719:
	s_andn2_b32 vcc_lo, exec_lo, s3
	s_cbranch_vccnz .LBB8_1721
.LBB8_1720:
	v_cmp_neq_f64_e32 vcc_lo, 0, v[0:1]
	s_mov_b32 s5, -1
	v_cndmask_b32_e64 v2, 0, 1, vcc_lo
	global_store_byte v[6:7], v2, off
.LBB8_1721:
	s_mov_b32 s0, 0
	s_branch .LBB8_1768
.LBB8_1722:
	s_mov_b32 s0, 0
	s_mov_b32 s2, 0
                                        ; implicit-def: $sgpr12
                                        ; implicit-def: $vgpr0_vgpr1
                                        ; implicit-def: $vgpr12_vgpr13
.LBB8_1723:
	s_andn2_b32 s1, s7, exec_lo
	s_and_b32 s3, s4, exec_lo
	s_and_b32 s0, s0, exec_lo
	;; [unrolled: 1-line block ×3, first 2 shown]
	s_or_b32 s7, s1, s3
.LBB8_1724:
	s_or_b32 exec_lo, exec_lo, s6
	s_and_saveexec_b32 s1, s7
	s_cbranch_execz .LBB8_1727
; %bb.1725:
	; divergent unreachable
	s_or_b32 exec_lo, exec_lo, s1
	s_and_saveexec_b32 s1, s4
	s_xor_b32 s1, exec_lo, s1
	s_cbranch_execnz .LBB8_1728
.LBB8_1726:
	s_or_b32 exec_lo, exec_lo, s1
	s_and_saveexec_b32 s1, s0
	s_cbranch_execnz .LBB8_1729
	s_branch .LBB8_1766
.LBB8_1727:
	s_or_b32 exec_lo, exec_lo, s1
	s_and_saveexec_b32 s1, s4
	s_xor_b32 s1, exec_lo, s1
	s_cbranch_execz .LBB8_1726
.LBB8_1728:
	v_cmp_neq_f64_e32 vcc_lo, 0, v[12:13]
	s_waitcnt vmcnt(0)
	v_cndmask_b32_e64 v2, 0, 1, vcc_lo
	global_store_byte v[0:1], v2, off
	s_or_b32 exec_lo, exec_lo, s1
	s_and_saveexec_b32 s1, s0
	s_cbranch_execz .LBB8_1766
.LBB8_1729:
	s_sext_i32_i16 s1, s12
	s_mov_b32 s0, -1
	s_cmp_lt_i32 s1, 5
	s_cbranch_scc1 .LBB8_1750
; %bb.1730:
	s_cmp_lt_i32 s1, 8
	s_cbranch_scc1 .LBB8_1740
; %bb.1731:
	;; [unrolled: 3-line block ×3, first 2 shown]
	s_cmp_gt_i32 s1, 9
	s_cbranch_scc0 .LBB8_1734
; %bb.1733:
	v_mov_b32_e32 v14, 0
	s_mov_b32 s0, 0
	v_mov_b32_e32 v15, v14
	global_store_dwordx4 v[0:1], v[12:15], off
.LBB8_1734:
	s_andn2_b32 vcc_lo, exec_lo, s0
	s_cbranch_vccnz .LBB8_1736
; %bb.1735:
	s_waitcnt vmcnt(0)
	v_cvt_f32_f64_e32 v2, v[12:13]
	v_mov_b32_e32 v3, 0
	global_store_dwordx2 v[0:1], v[2:3], off
.LBB8_1736:
	s_mov_b32 s0, 0
.LBB8_1737:
	s_andn2_b32 vcc_lo, exec_lo, s0
	s_cbranch_vccnz .LBB8_1739
; %bb.1738:
	s_waitcnt vmcnt(0)
	v_and_or_b32 v2, 0x1ff, v13, v12
	v_lshrrev_b32_e32 v3, 8, v13
	v_bfe_u32 v4, v13, 20, 11
	v_cmp_ne_u32_e32 vcc_lo, 0, v2
	v_sub_nc_u32_e32 v5, 0x3f1, v4
	v_add_nc_u32_e32 v4, 0xfffffc10, v4
	v_cndmask_b32_e64 v2, 0, 1, vcc_lo
	v_and_or_b32 v2, 0xffe, v3, v2
	v_med3_i32 v3, v5, 0, 13
	v_or_b32_e32 v5, 0x1000, v2
	v_lshrrev_b32_e32 v6, v3, v5
	v_lshlrev_b32_e32 v3, v3, v6
	v_cmp_ne_u32_e32 vcc_lo, v3, v5
	v_lshl_or_b32 v5, v4, 12, v2
	v_cndmask_b32_e64 v3, 0, 1, vcc_lo
	v_cmp_gt_i32_e32 vcc_lo, 1, v4
	v_or_b32_e32 v3, v6, v3
	v_cndmask_b32_e32 v3, v5, v3, vcc_lo
	v_and_b32_e32 v5, 7, v3
	v_lshrrev_b32_e32 v3, 2, v3
	v_cmp_lt_i32_e32 vcc_lo, 5, v5
	v_cndmask_b32_e64 v6, 0, 1, vcc_lo
	v_cmp_eq_u32_e32 vcc_lo, 3, v5
	v_cndmask_b32_e64 v5, 0, 1, vcc_lo
	v_cmp_ne_u32_e32 vcc_lo, 0, v2
	v_or_b32_e32 v5, v5, v6
	v_mov_b32_e32 v6, 0x7e00
	v_add_nc_u32_e32 v3, v3, v5
	v_cndmask_b32_e32 v2, 0x7c00, v6, vcc_lo
	v_cmp_gt_i32_e32 vcc_lo, 31, v4
	v_cndmask_b32_e32 v3, 0x7c00, v3, vcc_lo
	v_cmp_eq_u32_e32 vcc_lo, 0x40f, v4
	v_cndmask_b32_e32 v2, v3, v2, vcc_lo
	v_lshrrev_b32_e32 v3, 16, v13
	v_and_or_b32 v2, 0x8000, v3, v2
	v_and_b32_e32 v2, 0xffff, v2
	global_store_dword v[0:1], v2, off
.LBB8_1739:
	s_mov_b32 s0, 0
.LBB8_1740:
	s_andn2_b32 vcc_lo, exec_lo, s0
	s_cbranch_vccnz .LBB8_1749
; %bb.1741:
	s_sext_i32_i16 s1, s12
	s_mov_b32 s0, -1
	s_cmp_lt_i32 s1, 6
	s_cbranch_scc1 .LBB8_1747
; %bb.1742:
	s_cmp_gt_i32 s1, 6
	s_cbranch_scc0 .LBB8_1744
; %bb.1743:
	s_mov_b32 s0, 0
	global_store_dwordx2 v[0:1], v[12:13], off
.LBB8_1744:
	s_andn2_b32 vcc_lo, exec_lo, s0
	s_cbranch_vccnz .LBB8_1746
; %bb.1745:
	s_waitcnt vmcnt(0)
	v_cvt_f32_f64_e32 v2, v[12:13]
	global_store_dword v[0:1], v2, off
.LBB8_1746:
	s_mov_b32 s0, 0
.LBB8_1747:
	s_andn2_b32 vcc_lo, exec_lo, s0
	s_cbranch_vccnz .LBB8_1749
; %bb.1748:
	s_waitcnt vmcnt(0)
	v_and_or_b32 v2, 0x1ff, v13, v12
	v_lshrrev_b32_e32 v3, 8, v13
	v_bfe_u32 v4, v13, 20, 11
	v_cmp_ne_u32_e32 vcc_lo, 0, v2
	v_sub_nc_u32_e32 v5, 0x3f1, v4
	v_add_nc_u32_e32 v4, 0xfffffc10, v4
	v_cndmask_b32_e64 v2, 0, 1, vcc_lo
	v_and_or_b32 v2, 0xffe, v3, v2
	v_med3_i32 v3, v5, 0, 13
	v_or_b32_e32 v5, 0x1000, v2
	v_lshrrev_b32_e32 v6, v3, v5
	v_lshlrev_b32_e32 v3, v3, v6
	v_cmp_ne_u32_e32 vcc_lo, v3, v5
	v_lshl_or_b32 v5, v4, 12, v2
	v_cndmask_b32_e64 v3, 0, 1, vcc_lo
	v_cmp_gt_i32_e32 vcc_lo, 1, v4
	v_or_b32_e32 v3, v6, v3
	v_cndmask_b32_e32 v3, v5, v3, vcc_lo
	v_and_b32_e32 v5, 7, v3
	v_lshrrev_b32_e32 v3, 2, v3
	v_cmp_lt_i32_e32 vcc_lo, 5, v5
	v_cndmask_b32_e64 v6, 0, 1, vcc_lo
	v_cmp_eq_u32_e32 vcc_lo, 3, v5
	v_cndmask_b32_e64 v5, 0, 1, vcc_lo
	v_cmp_ne_u32_e32 vcc_lo, 0, v2
	v_or_b32_e32 v5, v5, v6
	v_mov_b32_e32 v6, 0x7e00
	v_add_nc_u32_e32 v3, v3, v5
	v_cndmask_b32_e32 v2, 0x7c00, v6, vcc_lo
	v_cmp_gt_i32_e32 vcc_lo, 31, v4
	v_cndmask_b32_e32 v3, 0x7c00, v3, vcc_lo
	v_cmp_eq_u32_e32 vcc_lo, 0x40f, v4
	v_cndmask_b32_e32 v2, v3, v2, vcc_lo
	v_lshrrev_b32_e32 v3, 16, v13
	v_and_or_b32 v2, 0x8000, v3, v2
	global_store_short v[0:1], v2, off
.LBB8_1749:
	s_mov_b32 s0, 0
.LBB8_1750:
	s_andn2_b32 vcc_lo, exec_lo, s0
	s_cbranch_vccnz .LBB8_1766
; %bb.1751:
	s_sext_i32_i16 s1, s12
	s_mov_b32 s0, -1
	s_cmp_lt_i32 s1, 2
	s_cbranch_scc1 .LBB8_1761
; %bb.1752:
	s_cmp_lt_i32 s1, 3
	s_cbranch_scc1 .LBB8_1758
; %bb.1753:
	s_cmp_gt_i32 s1, 3
	s_cbranch_scc0 .LBB8_1755
; %bb.1754:
	s_waitcnt vmcnt(0)
	v_trunc_f64_e32 v[2:3], v[12:13]
	s_mov_b32 s0, 0
	v_ldexp_f64 v[4:5], v[2:3], 0xffffffe0
	v_floor_f64_e32 v[4:5], v[4:5]
	v_fma_f64 v[2:3], 0xc1f00000, v[4:5], v[2:3]
	v_cvt_i32_f64_e32 v4, v[4:5]
	v_cvt_u32_f64_e32 v3, v[2:3]
	global_store_dwordx2 v[0:1], v[3:4], off
.LBB8_1755:
	s_andn2_b32 vcc_lo, exec_lo, s0
	s_cbranch_vccnz .LBB8_1757
; %bb.1756:
	s_waitcnt vmcnt(0)
	v_cvt_i32_f64_e32 v2, v[12:13]
	global_store_dword v[0:1], v2, off
.LBB8_1757:
	s_mov_b32 s0, 0
.LBB8_1758:
	s_andn2_b32 vcc_lo, exec_lo, s0
	s_cbranch_vccnz .LBB8_1760
; %bb.1759:
	s_waitcnt vmcnt(0)
	v_cvt_i32_f64_e32 v2, v[12:13]
	global_store_short v[0:1], v2, off
.LBB8_1760:
	s_mov_b32 s0, 0
.LBB8_1761:
	s_andn2_b32 vcc_lo, exec_lo, s0
	s_cbranch_vccnz .LBB8_1766
; %bb.1762:
	s_sext_i32_i16 s0, s12
	s_cmp_gt_i32 s0, 0
	s_mov_b32 s0, -1
	s_cbranch_scc0 .LBB8_1764
; %bb.1763:
	s_waitcnt vmcnt(0)
	v_cvt_i32_f64_e32 v2, v[12:13]
	s_mov_b32 s0, 0
	global_store_byte v[0:1], v2, off
.LBB8_1764:
	s_andn2_b32 vcc_lo, exec_lo, s0
	s_cbranch_vccnz .LBB8_1766
; %bb.1765:
	s_waitcnt vmcnt(0)
	v_trunc_f64_e32 v[2:3], v[12:13]
	v_ldexp_f64 v[4:5], v[2:3], 0xffffffe0
	v_floor_f64_e32 v[4:5], v[4:5]
	v_fma_f64 v[2:3], 0xc1f00000, v[4:5], v[2:3]
	v_cvt_u32_f64_e32 v2, v[2:3]
	global_store_byte v[0:1], v2, off
	s_endpgm
.LBB8_1766:
	s_endpgm
.LBB8_1767:
	s_mov_b32 s0, -1
	s_mov_b32 s5, 0
.LBB8_1768:
	s_and_b32 vcc_lo, exec_lo, s0
	s_cbranch_vccz .LBB8_1807
; %bb.1769:
	s_and_b32 s0, 0xffff, s12
	s_mov_b32 s1, -1
	s_cmp_lt_i32 s0, 5
	s_cbranch_scc1 .LBB8_1790
; %bb.1770:
	s_cmp_lt_i32 s0, 8
	s_cbranch_scc1 .LBB8_1780
; %bb.1771:
	;; [unrolled: 3-line block ×3, first 2 shown]
	s_cmp_gt_i32 s0, 9
	s_cbranch_scc0 .LBB8_1774
; %bb.1773:
	v_mov_b32_e32 v2, 0
	s_mov_b32 s1, 0
	v_mov_b32_e32 v3, v2
	global_store_dwordx4 v[6:7], v[0:3], off
.LBB8_1774:
	s_andn2_b32 vcc_lo, exec_lo, s1
	s_cbranch_vccnz .LBB8_1776
; %bb.1775:
	v_cvt_f32_f64_e32 v2, v[0:1]
	v_mov_b32_e32 v3, 0
	global_store_dwordx2 v[6:7], v[2:3], off
.LBB8_1776:
	s_mov_b32 s1, 0
.LBB8_1777:
	s_andn2_b32 vcc_lo, exec_lo, s1
	s_cbranch_vccnz .LBB8_1779
; %bb.1778:
	v_and_or_b32 v2, 0x1ff, v1, v0
	v_lshrrev_b32_e32 v3, 8, v1
	v_bfe_u32 v11, v1, 20, 11
	v_cmp_ne_u32_e32 vcc_lo, 0, v2
	v_sub_nc_u32_e32 v14, 0x3f1, v11
	v_add_nc_u32_e32 v11, 0xfffffc10, v11
	v_cndmask_b32_e64 v2, 0, 1, vcc_lo
	v_and_or_b32 v2, 0xffe, v3, v2
	v_med3_i32 v3, v14, 0, 13
	v_or_b32_e32 v14, 0x1000, v2
	v_lshrrev_b32_e32 v15, v3, v14
	v_lshlrev_b32_e32 v3, v3, v15
	v_cmp_ne_u32_e32 vcc_lo, v3, v14
	v_lshl_or_b32 v14, v11, 12, v2
	v_cndmask_b32_e64 v3, 0, 1, vcc_lo
	v_cmp_gt_i32_e32 vcc_lo, 1, v11
	v_or_b32_e32 v3, v15, v3
	v_cndmask_b32_e32 v3, v14, v3, vcc_lo
	v_and_b32_e32 v14, 7, v3
	v_lshrrev_b32_e32 v3, 2, v3
	v_cmp_lt_i32_e32 vcc_lo, 5, v14
	v_cndmask_b32_e64 v15, 0, 1, vcc_lo
	v_cmp_eq_u32_e32 vcc_lo, 3, v14
	v_cndmask_b32_e64 v14, 0, 1, vcc_lo
	v_cmp_ne_u32_e32 vcc_lo, 0, v2
	v_or_b32_e32 v14, v14, v15
	v_mov_b32_e32 v15, 0x7e00
	v_add_nc_u32_e32 v3, v3, v14
	v_cndmask_b32_e32 v2, 0x7c00, v15, vcc_lo
	v_cmp_gt_i32_e32 vcc_lo, 31, v11
	v_cndmask_b32_e32 v3, 0x7c00, v3, vcc_lo
	v_cmp_eq_u32_e32 vcc_lo, 0x40f, v11
	v_cndmask_b32_e32 v2, v3, v2, vcc_lo
	v_lshrrev_b32_e32 v3, 16, v1
	v_and_or_b32 v2, 0x8000, v3, v2
	v_and_b32_e32 v2, 0xffff, v2
	global_store_dword v[6:7], v2, off
.LBB8_1779:
	s_mov_b32 s1, 0
.LBB8_1780:
	s_andn2_b32 vcc_lo, exec_lo, s1
	s_cbranch_vccnz .LBB8_1789
; %bb.1781:
	s_cmp_lt_i32 s0, 6
	s_mov_b32 s1, -1
	s_cbranch_scc1 .LBB8_1787
; %bb.1782:
	s_cmp_gt_i32 s0, 6
	s_cbranch_scc0 .LBB8_1784
; %bb.1783:
	s_mov_b32 s1, 0
	global_store_dwordx2 v[6:7], v[0:1], off
.LBB8_1784:
	s_andn2_b32 vcc_lo, exec_lo, s1
	s_cbranch_vccnz .LBB8_1786
; %bb.1785:
	v_cvt_f32_f64_e32 v2, v[0:1]
	global_store_dword v[6:7], v2, off
.LBB8_1786:
	s_mov_b32 s1, 0
.LBB8_1787:
	s_andn2_b32 vcc_lo, exec_lo, s1
	s_cbranch_vccnz .LBB8_1789
; %bb.1788:
	v_and_or_b32 v2, 0x1ff, v1, v0
	v_lshrrev_b32_e32 v3, 8, v1
	v_bfe_u32 v11, v1, 20, 11
	v_cmp_ne_u32_e32 vcc_lo, 0, v2
	v_sub_nc_u32_e32 v14, 0x3f1, v11
	v_add_nc_u32_e32 v11, 0xfffffc10, v11
	v_cndmask_b32_e64 v2, 0, 1, vcc_lo
	v_and_or_b32 v2, 0xffe, v3, v2
	v_med3_i32 v3, v14, 0, 13
	v_or_b32_e32 v14, 0x1000, v2
	v_lshrrev_b32_e32 v15, v3, v14
	v_lshlrev_b32_e32 v3, v3, v15
	v_cmp_ne_u32_e32 vcc_lo, v3, v14
	v_lshl_or_b32 v14, v11, 12, v2
	v_cndmask_b32_e64 v3, 0, 1, vcc_lo
	v_cmp_gt_i32_e32 vcc_lo, 1, v11
	v_or_b32_e32 v3, v15, v3
	v_cndmask_b32_e32 v3, v14, v3, vcc_lo
	v_and_b32_e32 v14, 7, v3
	v_lshrrev_b32_e32 v3, 2, v3
	v_cmp_lt_i32_e32 vcc_lo, 5, v14
	v_cndmask_b32_e64 v15, 0, 1, vcc_lo
	v_cmp_eq_u32_e32 vcc_lo, 3, v14
	v_cndmask_b32_e64 v14, 0, 1, vcc_lo
	v_cmp_ne_u32_e32 vcc_lo, 0, v2
	v_or_b32_e32 v14, v14, v15
	v_mov_b32_e32 v15, 0x7e00
	v_add_nc_u32_e32 v3, v3, v14
	v_cndmask_b32_e32 v2, 0x7c00, v15, vcc_lo
	v_cmp_gt_i32_e32 vcc_lo, 31, v11
	v_cndmask_b32_e32 v3, 0x7c00, v3, vcc_lo
	v_cmp_eq_u32_e32 vcc_lo, 0x40f, v11
	v_cndmask_b32_e32 v2, v3, v2, vcc_lo
	v_lshrrev_b32_e32 v3, 16, v1
	v_and_or_b32 v2, 0x8000, v3, v2
	global_store_short v[6:7], v2, off
.LBB8_1789:
	s_mov_b32 s1, 0
.LBB8_1790:
	s_andn2_b32 vcc_lo, exec_lo, s1
	s_cbranch_vccnz .LBB8_1806
; %bb.1791:
	s_cmp_lt_i32 s0, 2
	s_mov_b32 s1, -1
	s_cbranch_scc1 .LBB8_1801
; %bb.1792:
	s_cmp_lt_i32 s0, 3
	s_cbranch_scc1 .LBB8_1798
; %bb.1793:
	s_cmp_gt_i32 s0, 3
	s_cbranch_scc0 .LBB8_1795
; %bb.1794:
	v_trunc_f64_e32 v[2:3], v[0:1]
	s_mov_b32 s1, 0
	v_ldexp_f64 v[14:15], v[2:3], 0xffffffe0
	v_floor_f64_e32 v[14:15], v[14:15]
	v_fma_f64 v[2:3], 0xc1f00000, v[14:15], v[2:3]
	v_cvt_i32_f64_e32 v15, v[14:15]
	v_cvt_u32_f64_e32 v14, v[2:3]
	global_store_dwordx2 v[6:7], v[14:15], off
.LBB8_1795:
	s_andn2_b32 vcc_lo, exec_lo, s1
	s_cbranch_vccnz .LBB8_1797
; %bb.1796:
	v_cvt_i32_f64_e32 v2, v[0:1]
	global_store_dword v[6:7], v2, off
.LBB8_1797:
	s_mov_b32 s1, 0
.LBB8_1798:
	s_andn2_b32 vcc_lo, exec_lo, s1
	s_cbranch_vccnz .LBB8_1800
; %bb.1799:
	v_cvt_i32_f64_e32 v2, v[0:1]
	global_store_short v[6:7], v2, off
.LBB8_1800:
	s_mov_b32 s1, 0
.LBB8_1801:
	s_andn2_b32 vcc_lo, exec_lo, s1
	s_cbranch_vccnz .LBB8_1806
; %bb.1802:
	s_cmp_gt_i32 s0, 0
	s_mov_b32 s0, -1
	s_cbranch_scc0 .LBB8_1804
; %bb.1803:
	v_cvt_i32_f64_e32 v2, v[0:1]
	s_mov_b32 s0, 0
	global_store_byte v[6:7], v2, off
.LBB8_1804:
	s_andn2_b32 vcc_lo, exec_lo, s0
	s_cbranch_vccnz .LBB8_1806
; %bb.1805:
	v_trunc_f64_e32 v[0:1], v[0:1]
	v_ldexp_f64 v[2:3], v[0:1], 0xffffffe0
	v_floor_f64_e32 v[2:3], v[2:3]
	v_fma_f64 v[0:1], 0xc1f00000, v[2:3], v[0:1]
	v_cvt_u32_f64_e32 v0, v[0:1]
	global_store_byte v[6:7], v0, off
.LBB8_1806:
	s_mov_b32 s5, -1
.LBB8_1807:
	s_andn2_b32 vcc_lo, exec_lo, s5
	s_cbranch_vccnz .LBB8_2122
; %bb.1808:
	s_lshl_b32 s1, s2, 7
	s_cmp_lt_i32 s12, 11
	v_add_nc_u32_e32 v2, s1, v10
	v_ashrrev_i32_e32 v1, 31, v2
	v_add_co_u32 v0, vcc_lo, s8, v2
	v_add_co_ci_u32_e64 v1, null, s9, v1, vcc_lo
	s_cbranch_scc1 .LBB8_1886
; %bb.1809:
	s_and_b32 s2, 0xffff, s12
	s_mov_b32 s10, -1
	s_mov_b32 s3, 0
	s_cmp_gt_i32 s2, 25
	s_mov_b32 s5, 0
	s_mov_b32 s0, 0
	s_cbranch_scc0 .LBB8_1842
; %bb.1810:
	s_cmp_gt_i32 s2, 28
	s_cbranch_scc0 .LBB8_1825
; %bb.1811:
	s_cmp_gt_i32 s2, 43
	;; [unrolled: 3-line block ×3, first 2 shown]
	s_cbranch_scc0 .LBB8_1815
; %bb.1813:
	s_mov_b32 s0, -1
	s_mov_b32 s10, 0
	s_cmp_eq_u32 s2, 46
	s_cbranch_scc0 .LBB8_1815
; %bb.1814:
	v_cvt_f32_f64_e32 v3, v[4:5]
	s_mov_b32 s0, 0
	s_mov_b32 s5, -1
	v_bfe_u32 v6, v3, 16, 1
	v_cmp_o_f32_e32 vcc_lo, v3, v3
	v_add3_u32 v3, v3, v6, 0x7fff
	v_mov_b32_e32 v6, 0x7fc0
	v_cndmask_b32_sdwa v3, v6, v3, vcc_lo dst_sel:DWORD dst_unused:UNUSED_PAD src0_sel:DWORD src1_sel:WORD_1
	global_store_dword v[0:1], v3, off
.LBB8_1815:
	s_and_b32 vcc_lo, exec_lo, s10
	s_cbranch_vccz .LBB8_1820
; %bb.1816:
	s_cmp_eq_u32 s2, 44
	s_mov_b32 s0, -1
	s_cbranch_scc0 .LBB8_1820
; %bb.1817:
	v_cvt_f32_f64_e32 v3, v[4:5]
	v_mov_b32_e32 v6, 0xff
	s_mov_b32 s5, exec_lo
	v_bfe_u32 v7, v3, 23, 8
	v_cmpx_ne_u32_e32 0xff, v7
	s_cbranch_execz .LBB8_1819
; %bb.1818:
	v_and_b32_e32 v6, 0x400000, v3
	v_and_or_b32 v7, 0x3fffff, v3, v7
	v_lshrrev_b32_e32 v3, 23, v3
	v_cmp_ne_u32_e32 vcc_lo, 0, v6
	v_cmp_ne_u32_e64 s0, 0, v7
	s_and_b32 s0, vcc_lo, s0
	v_cndmask_b32_e64 v6, 0, 1, s0
	v_add_nc_u32_e32 v6, v3, v6
.LBB8_1819:
	s_or_b32 exec_lo, exec_lo, s5
	s_mov_b32 s0, 0
	s_mov_b32 s5, -1
	global_store_byte v[0:1], v6, off
.LBB8_1820:
	s_mov_b32 s10, 0
.LBB8_1821:
	s_and_b32 vcc_lo, exec_lo, s10
	s_cbranch_vccz .LBB8_1824
; %bb.1822:
	s_cmp_eq_u32 s2, 29
	s_mov_b32 s0, -1
	s_cbranch_scc0 .LBB8_1824
; %bb.1823:
	v_trunc_f64_e32 v[6:7], v[4:5]
	s_mov_b32 s0, 0
	s_mov_b32 s5, -1
	v_ldexp_f64 v[10:11], v[6:7], 0xffffffe0
	v_floor_f64_e32 v[10:11], v[10:11]
	v_fma_f64 v[6:7], 0xc1f00000, v[10:11], v[6:7]
	v_cvt_u32_f64_e32 v11, v[10:11]
	v_cvt_u32_f64_e32 v10, v[6:7]
	global_store_dwordx2 v[0:1], v[10:11], off
.LBB8_1824:
	s_mov_b32 s10, 0
.LBB8_1825:
	s_and_b32 vcc_lo, exec_lo, s10
	s_cbranch_vccz .LBB8_1841
; %bb.1826:
	s_cmp_lt_i32 s2, 27
	s_mov_b32 s5, -1
	s_cbranch_scc1 .LBB8_1832
; %bb.1827:
	v_cvt_u32_f64_e32 v3, v[4:5]
	s_cmp_gt_i32 s2, 27
	s_cbranch_scc0 .LBB8_1829
; %bb.1828:
	s_mov_b32 s5, 0
	global_store_dword v[0:1], v3, off
.LBB8_1829:
	s_andn2_b32 vcc_lo, exec_lo, s5
	s_cbranch_vccnz .LBB8_1831
; %bb.1830:
	global_store_short v[0:1], v3, off
.LBB8_1831:
	s_mov_b32 s5, 0
.LBB8_1832:
	s_andn2_b32 vcc_lo, exec_lo, s5
	s_cbranch_vccnz .LBB8_1840
; %bb.1833:
	v_cvt_f32_f64_e32 v3, v[4:5]
	v_mov_b32_e32 v7, 0x80
	s_mov_b32 s5, exec_lo
	v_and_b32_e32 v6, 0x7fffffff, v3
	v_cmpx_gt_u32_e32 0x43800000, v6
	s_cbranch_execz .LBB8_1839
; %bb.1834:
	v_cmp_lt_u32_e32 vcc_lo, 0x3bffffff, v6
	s_mov_b32 s10, 0
                                        ; implicit-def: $vgpr6
	s_and_saveexec_b32 s11, vcc_lo
	s_xor_b32 s11, exec_lo, s11
	s_cbranch_execz .LBB8_2130
; %bb.1835:
	v_bfe_u32 v6, v3, 20, 1
	s_mov_b32 s10, exec_lo
	v_add3_u32 v6, v3, v6, 0x487ffff
	v_lshrrev_b32_e32 v6, 20, v6
	s_andn2_saveexec_b32 s11, s11
	s_cbranch_execnz .LBB8_2131
.LBB8_1836:
	s_or_b32 exec_lo, exec_lo, s11
	v_mov_b32_e32 v7, 0
	s_and_saveexec_b32 s11, s10
.LBB8_1837:
	v_lshrrev_b32_e32 v3, 24, v3
	v_and_or_b32 v7, 0x80, v3, v6
.LBB8_1838:
	s_or_b32 exec_lo, exec_lo, s11
.LBB8_1839:
	s_or_b32 exec_lo, exec_lo, s5
	global_store_byte v[0:1], v7, off
.LBB8_1840:
	s_mov_b32 s5, -1
.LBB8_1841:
	s_mov_b32 s10, 0
.LBB8_1842:
	s_and_b32 vcc_lo, exec_lo, s10
	s_cbranch_vccz .LBB8_1882
; %bb.1843:
	s_cmp_gt_i32 s2, 22
	s_mov_b32 s3, -1
	s_cbranch_scc0 .LBB8_1875
; %bb.1844:
	s_cmp_lt_i32 s2, 24
	s_cbranch_scc1 .LBB8_1864
; %bb.1845:
	s_cmp_gt_i32 s2, 24
	s_cbranch_scc0 .LBB8_1853
; %bb.1846:
	v_cvt_f32_f64_e32 v3, v[4:5]
	v_mov_b32_e32 v7, 0x80
	s_mov_b32 s3, exec_lo
	v_and_b32_e32 v6, 0x7fffffff, v3
	v_cmpx_gt_u32_e32 0x47800000, v6
	s_cbranch_execz .LBB8_1852
; %bb.1847:
	v_cmp_lt_u32_e32 vcc_lo, 0x37ffffff, v6
	s_mov_b32 s5, 0
                                        ; implicit-def: $vgpr6
	s_and_saveexec_b32 s10, vcc_lo
	s_xor_b32 s10, exec_lo, s10
	s_cbranch_execz .LBB8_2133
; %bb.1848:
	v_bfe_u32 v6, v3, 21, 1
	s_mov_b32 s5, exec_lo
	v_add3_u32 v6, v3, v6, 0x88fffff
	v_lshrrev_b32_e32 v6, 21, v6
	s_andn2_saveexec_b32 s10, s10
	s_cbranch_execnz .LBB8_2134
.LBB8_1849:
	s_or_b32 exec_lo, exec_lo, s10
	v_mov_b32_e32 v7, 0
	s_and_saveexec_b32 s10, s5
.LBB8_1850:
	v_lshrrev_b32_e32 v3, 24, v3
	v_and_or_b32 v7, 0x80, v3, v6
.LBB8_1851:
	s_or_b32 exec_lo, exec_lo, s10
.LBB8_1852:
	s_or_b32 exec_lo, exec_lo, s3
	s_mov_b32 s3, 0
	global_store_byte v[0:1], v7, off
.LBB8_1853:
	s_and_b32 vcc_lo, exec_lo, s3
	s_cbranch_vccz .LBB8_1863
; %bb.1854:
	v_cvt_f32_f64_e32 v3, v[4:5]
	s_mov_b32 s3, exec_lo
                                        ; implicit-def: $vgpr6
	v_and_b32_e32 v7, 0x7fffffff, v3
	v_cmpx_gt_u32_e32 0x43f00000, v7
	s_xor_b32 s3, exec_lo, s3
	s_cbranch_execz .LBB8_1860
; %bb.1855:
	s_mov_b32 s5, exec_lo
                                        ; implicit-def: $vgpr6
	v_cmpx_lt_u32_e32 0x3c7fffff, v7
	s_xor_b32 s5, exec_lo, s5
; %bb.1856:
	v_bfe_u32 v6, v3, 20, 1
	v_add3_u32 v6, v3, v6, 0x407ffff
	v_and_b32_e32 v7, 0xff00000, v6
	v_lshrrev_b32_e32 v6, 20, v6
	v_cmp_ne_u32_e32 vcc_lo, 0x7f00000, v7
	v_cndmask_b32_e32 v6, 0x7e, v6, vcc_lo
; %bb.1857:
	s_andn2_saveexec_b32 s5, s5
; %bb.1858:
	v_add_f32_e64 v6, 0x46800000, |v3|
; %bb.1859:
	s_or_b32 exec_lo, exec_lo, s5
                                        ; implicit-def: $vgpr7
.LBB8_1860:
	s_andn2_saveexec_b32 s3, s3
; %bb.1861:
	v_mov_b32_e32 v6, 0x7f
	v_cmp_lt_u32_e32 vcc_lo, 0x7f800000, v7
	v_cndmask_b32_e32 v6, 0x7e, v6, vcc_lo
; %bb.1862:
	s_or_b32 exec_lo, exec_lo, s3
	v_lshrrev_b32_e32 v3, 24, v3
	v_and_or_b32 v3, 0x80, v3, v6
	global_store_byte v[0:1], v3, off
.LBB8_1863:
	s_mov_b32 s3, 0
.LBB8_1864:
	s_andn2_b32 vcc_lo, exec_lo, s3
	s_cbranch_vccnz .LBB8_1874
; %bb.1865:
	v_cvt_f32_f64_e32 v3, v[4:5]
	s_mov_b32 s3, exec_lo
                                        ; implicit-def: $vgpr6
	v_and_b32_e32 v7, 0x7fffffff, v3
	v_cmpx_gt_u32_e32 0x47800000, v7
	s_xor_b32 s3, exec_lo, s3
	s_cbranch_execz .LBB8_1871
; %bb.1866:
	s_mov_b32 s5, exec_lo
                                        ; implicit-def: $vgpr6
	v_cmpx_lt_u32_e32 0x387fffff, v7
	s_xor_b32 s5, exec_lo, s5
; %bb.1867:
	v_bfe_u32 v6, v3, 21, 1
	v_add3_u32 v6, v3, v6, 0x80fffff
	v_lshrrev_b32_e32 v6, 21, v6
; %bb.1868:
	s_andn2_saveexec_b32 s5, s5
; %bb.1869:
	v_add_f32_e64 v6, 0x43000000, |v3|
; %bb.1870:
	s_or_b32 exec_lo, exec_lo, s5
                                        ; implicit-def: $vgpr7
.LBB8_1871:
	s_andn2_saveexec_b32 s3, s3
; %bb.1872:
	v_mov_b32_e32 v6, 0x7f
	v_cmp_lt_u32_e32 vcc_lo, 0x7f800000, v7
	v_cndmask_b32_e32 v6, 0x7c, v6, vcc_lo
; %bb.1873:
	s_or_b32 exec_lo, exec_lo, s3
	v_lshrrev_b32_e32 v3, 24, v3
	v_and_or_b32 v3, 0x80, v3, v6
	global_store_byte v[0:1], v3, off
.LBB8_1874:
	s_mov_b32 s3, 0
	s_mov_b32 s5, -1
.LBB8_1875:
	s_andn2_b32 vcc_lo, exec_lo, s3
	s_mov_b32 s3, 0
	s_cbranch_vccnz .LBB8_1882
; %bb.1876:
	s_cmp_gt_i32 s2, 14
	s_mov_b32 s3, -1
	s_cbranch_scc0 .LBB8_1880
; %bb.1877:
	s_cmp_eq_u32 s2, 15
	s_mov_b32 s0, -1
	s_cbranch_scc0 .LBB8_1879
; %bb.1878:
	v_cvt_f32_f64_e32 v3, v[4:5]
	s_mov_b32 s0, 0
	s_mov_b32 s5, -1
	v_bfe_u32 v6, v3, 16, 1
	v_cmp_o_f32_e32 vcc_lo, v3, v3
	v_add3_u32 v3, v3, v6, 0x7fff
	v_mov_b32_e32 v6, 0x7fc0
	v_cndmask_b32_sdwa v3, v6, v3, vcc_lo dst_sel:DWORD dst_unused:UNUSED_PAD src0_sel:DWORD src1_sel:WORD_1
	global_store_short v[0:1], v3, off
.LBB8_1879:
	s_mov_b32 s3, 0
.LBB8_1880:
	s_and_b32 vcc_lo, exec_lo, s3
	s_mov_b32 s3, 0
	s_cbranch_vccz .LBB8_1882
; %bb.1881:
	s_cmp_lg_u32 s2, 11
	s_mov_b32 s3, -1
	s_cselect_b32 s0, -1, 0
.LBB8_1882:
	s_and_b32 vcc_lo, exec_lo, s0
	s_cbranch_vccnz .LBB8_2132
; %bb.1883:
	s_andn2_b32 vcc_lo, exec_lo, s3
	s_cbranch_vccnz .LBB8_1885
.LBB8_1884:
	v_cmp_neq_f64_e32 vcc_lo, 0, v[4:5]
	s_mov_b32 s5, -1
	v_cndmask_b32_e64 v3, 0, 1, vcc_lo
	global_store_byte v[0:1], v3, off
.LBB8_1885:
	s_mov_b32 s0, 0
	s_branch .LBB8_1887
.LBB8_1886:
	s_mov_b32 s0, -1
	s_mov_b32 s5, 0
.LBB8_1887:
	s_and_b32 vcc_lo, exec_lo, s0
	s_cbranch_vccz .LBB8_1926
; %bb.1888:
	s_and_b32 s0, 0xffff, s12
	s_mov_b32 s2, -1
	s_cmp_lt_i32 s0, 5
	s_cbranch_scc1 .LBB8_1909
; %bb.1889:
	s_cmp_lt_i32 s0, 8
	s_cbranch_scc1 .LBB8_1899
; %bb.1890:
	;; [unrolled: 3-line block ×3, first 2 shown]
	s_cmp_gt_i32 s0, 9
	s_cbranch_scc0 .LBB8_1893
; %bb.1892:
	v_mov_b32_e32 v6, 0
	s_mov_b32 s2, 0
	v_mov_b32_e32 v7, v6
	global_store_dwordx4 v[0:1], v[4:7], off
.LBB8_1893:
	s_andn2_b32 vcc_lo, exec_lo, s2
	s_cbranch_vccnz .LBB8_1895
; %bb.1894:
	v_cvt_f32_f64_e32 v6, v[4:5]
	v_mov_b32_e32 v7, 0
	global_store_dwordx2 v[0:1], v[6:7], off
.LBB8_1895:
	s_mov_b32 s2, 0
.LBB8_1896:
	s_andn2_b32 vcc_lo, exec_lo, s2
	s_cbranch_vccnz .LBB8_1898
; %bb.1897:
	v_and_or_b32 v3, 0x1ff, v5, v4
	v_lshrrev_b32_e32 v6, 8, v5
	v_bfe_u32 v7, v5, 20, 11
	v_cmp_ne_u32_e32 vcc_lo, 0, v3
	v_sub_nc_u32_e32 v10, 0x3f1, v7
	v_add_nc_u32_e32 v7, 0xfffffc10, v7
	v_cndmask_b32_e64 v3, 0, 1, vcc_lo
	v_and_or_b32 v3, 0xffe, v6, v3
	v_med3_i32 v6, v10, 0, 13
	v_or_b32_e32 v10, 0x1000, v3
	v_lshrrev_b32_e32 v11, v6, v10
	v_lshlrev_b32_e32 v6, v6, v11
	v_cmp_ne_u32_e32 vcc_lo, v6, v10
	v_lshl_or_b32 v10, v7, 12, v3
	v_cndmask_b32_e64 v6, 0, 1, vcc_lo
	v_cmp_gt_i32_e32 vcc_lo, 1, v7
	v_or_b32_e32 v6, v11, v6
	v_cndmask_b32_e32 v6, v10, v6, vcc_lo
	v_and_b32_e32 v10, 7, v6
	v_lshrrev_b32_e32 v6, 2, v6
	v_cmp_lt_i32_e32 vcc_lo, 5, v10
	v_cndmask_b32_e64 v11, 0, 1, vcc_lo
	v_cmp_eq_u32_e32 vcc_lo, 3, v10
	v_cndmask_b32_e64 v10, 0, 1, vcc_lo
	v_cmp_ne_u32_e32 vcc_lo, 0, v3
	v_or_b32_e32 v10, v10, v11
	v_mov_b32_e32 v11, 0x7e00
	v_add_nc_u32_e32 v6, v6, v10
	v_cndmask_b32_e32 v3, 0x7c00, v11, vcc_lo
	v_cmp_gt_i32_e32 vcc_lo, 31, v7
	v_cndmask_b32_e32 v6, 0x7c00, v6, vcc_lo
	v_cmp_eq_u32_e32 vcc_lo, 0x40f, v7
	v_cndmask_b32_e32 v3, v6, v3, vcc_lo
	v_lshrrev_b32_e32 v6, 16, v5
	v_and_or_b32 v3, 0x8000, v6, v3
	v_and_b32_e32 v3, 0xffff, v3
	global_store_dword v[0:1], v3, off
.LBB8_1898:
	s_mov_b32 s2, 0
.LBB8_1899:
	s_andn2_b32 vcc_lo, exec_lo, s2
	s_cbranch_vccnz .LBB8_1908
; %bb.1900:
	s_cmp_lt_i32 s0, 6
	s_mov_b32 s2, -1
	s_cbranch_scc1 .LBB8_1906
; %bb.1901:
	s_cmp_gt_i32 s0, 6
	s_cbranch_scc0 .LBB8_1903
; %bb.1902:
	s_mov_b32 s2, 0
	global_store_dwordx2 v[0:1], v[4:5], off
.LBB8_1903:
	s_andn2_b32 vcc_lo, exec_lo, s2
	s_cbranch_vccnz .LBB8_1905
; %bb.1904:
	v_cvt_f32_f64_e32 v3, v[4:5]
	global_store_dword v[0:1], v3, off
.LBB8_1905:
	s_mov_b32 s2, 0
.LBB8_1906:
	s_andn2_b32 vcc_lo, exec_lo, s2
	s_cbranch_vccnz .LBB8_1908
; %bb.1907:
	v_and_or_b32 v3, 0x1ff, v5, v4
	v_lshrrev_b32_e32 v6, 8, v5
	v_bfe_u32 v7, v5, 20, 11
	v_cmp_ne_u32_e32 vcc_lo, 0, v3
	v_sub_nc_u32_e32 v10, 0x3f1, v7
	v_add_nc_u32_e32 v7, 0xfffffc10, v7
	v_cndmask_b32_e64 v3, 0, 1, vcc_lo
	v_and_or_b32 v3, 0xffe, v6, v3
	v_med3_i32 v6, v10, 0, 13
	v_or_b32_e32 v10, 0x1000, v3
	v_lshrrev_b32_e32 v11, v6, v10
	v_lshlrev_b32_e32 v6, v6, v11
	v_cmp_ne_u32_e32 vcc_lo, v6, v10
	v_lshl_or_b32 v10, v7, 12, v3
	v_cndmask_b32_e64 v6, 0, 1, vcc_lo
	v_cmp_gt_i32_e32 vcc_lo, 1, v7
	v_or_b32_e32 v6, v11, v6
	v_cndmask_b32_e32 v6, v10, v6, vcc_lo
	v_and_b32_e32 v10, 7, v6
	v_lshrrev_b32_e32 v6, 2, v6
	v_cmp_lt_i32_e32 vcc_lo, 5, v10
	v_cndmask_b32_e64 v11, 0, 1, vcc_lo
	v_cmp_eq_u32_e32 vcc_lo, 3, v10
	v_cndmask_b32_e64 v10, 0, 1, vcc_lo
	v_cmp_ne_u32_e32 vcc_lo, 0, v3
	v_or_b32_e32 v10, v10, v11
	v_mov_b32_e32 v11, 0x7e00
	v_add_nc_u32_e32 v6, v6, v10
	v_cndmask_b32_e32 v3, 0x7c00, v11, vcc_lo
	v_cmp_gt_i32_e32 vcc_lo, 31, v7
	v_cndmask_b32_e32 v6, 0x7c00, v6, vcc_lo
	v_cmp_eq_u32_e32 vcc_lo, 0x40f, v7
	v_cndmask_b32_e32 v3, v6, v3, vcc_lo
	v_lshrrev_b32_e32 v6, 16, v5
	v_and_or_b32 v3, 0x8000, v6, v3
	global_store_short v[0:1], v3, off
.LBB8_1908:
	s_mov_b32 s2, 0
.LBB8_1909:
	s_andn2_b32 vcc_lo, exec_lo, s2
	s_cbranch_vccnz .LBB8_1925
; %bb.1910:
	s_cmp_lt_i32 s0, 2
	s_mov_b32 s2, -1
	s_cbranch_scc1 .LBB8_1920
; %bb.1911:
	s_cmp_lt_i32 s0, 3
	s_cbranch_scc1 .LBB8_1917
; %bb.1912:
	s_cmp_gt_i32 s0, 3
	s_cbranch_scc0 .LBB8_1914
; %bb.1913:
	v_trunc_f64_e32 v[6:7], v[4:5]
	s_mov_b32 s2, 0
	v_ldexp_f64 v[10:11], v[6:7], 0xffffffe0
	v_floor_f64_e32 v[10:11], v[10:11]
	v_fma_f64 v[6:7], 0xc1f00000, v[10:11], v[6:7]
	v_cvt_i32_f64_e32 v11, v[10:11]
	v_cvt_u32_f64_e32 v10, v[6:7]
	global_store_dwordx2 v[0:1], v[10:11], off
.LBB8_1914:
	s_andn2_b32 vcc_lo, exec_lo, s2
	s_cbranch_vccnz .LBB8_1916
; %bb.1915:
	v_cvt_i32_f64_e32 v3, v[4:5]
	global_store_dword v[0:1], v3, off
.LBB8_1916:
	s_mov_b32 s2, 0
.LBB8_1917:
	s_andn2_b32 vcc_lo, exec_lo, s2
	s_cbranch_vccnz .LBB8_1919
; %bb.1918:
	v_cvt_i32_f64_e32 v3, v[4:5]
	global_store_short v[0:1], v3, off
.LBB8_1919:
	s_mov_b32 s2, 0
.LBB8_1920:
	s_andn2_b32 vcc_lo, exec_lo, s2
	s_cbranch_vccnz .LBB8_1925
; %bb.1921:
	s_cmp_gt_i32 s0, 0
	s_mov_b32 s0, -1
	s_cbranch_scc0 .LBB8_1923
; %bb.1922:
	v_cvt_i32_f64_e32 v3, v[4:5]
	s_mov_b32 s0, 0
	global_store_byte v[0:1], v3, off
.LBB8_1923:
	s_andn2_b32 vcc_lo, exec_lo, s0
	s_cbranch_vccnz .LBB8_1925
; %bb.1924:
	v_trunc_f64_e32 v[3:4], v[4:5]
	v_ldexp_f64 v[5:6], v[3:4], 0xffffffe0
	v_floor_f64_e32 v[5:6], v[5:6]
	v_fma_f64 v[3:4], 0xc1f00000, v[5:6], v[3:4]
	v_cvt_u32_f64_e32 v3, v[3:4]
	global_store_byte v[0:1], v3, off
.LBB8_1925:
	s_mov_b32 s5, -1
.LBB8_1926:
	s_andn2_b32 vcc_lo, exec_lo, s5
	s_cbranch_vccnz .LBB8_2122
; %bb.1927:
	v_add_nc_u32_e32 v2, s1, v2
	s_cmp_lt_i32 s12, 11
	v_ashrrev_i32_e32 v1, 31, v2
	v_add_co_u32 v0, vcc_lo, s8, v2
	v_add_co_ci_u32_e64 v1, null, s9, v1, vcc_lo
	s_cbranch_scc1 .LBB8_2005
; %bb.1928:
	s_and_b32 s2, 0xffff, s12
	s_mov_b32 s10, -1
	s_mov_b32 s3, 0
	s_cmp_gt_i32 s2, 25
	s_mov_b32 s5, 0
	s_mov_b32 s0, 0
	s_cbranch_scc0 .LBB8_1961
; %bb.1929:
	s_cmp_gt_i32 s2, 28
	s_cbranch_scc0 .LBB8_1944
; %bb.1930:
	s_cmp_gt_i32 s2, 43
	s_cbranch_scc0 .LBB8_1940
; %bb.1931:
	s_cmp_gt_i32 s2, 45
	s_cbranch_scc0 .LBB8_1934
; %bb.1932:
	s_mov_b32 s0, -1
	s_mov_b32 s10, 0
	s_cmp_eq_u32 s2, 46
	s_cbranch_scc0 .LBB8_1934
; %bb.1933:
	v_cvt_f32_f64_e32 v3, v[8:9]
	s_mov_b32 s0, 0
	s_mov_b32 s5, -1
	v_bfe_u32 v4, v3, 16, 1
	v_cmp_o_f32_e32 vcc_lo, v3, v3
	v_add3_u32 v3, v3, v4, 0x7fff
	v_mov_b32_e32 v4, 0x7fc0
	v_cndmask_b32_sdwa v3, v4, v3, vcc_lo dst_sel:DWORD dst_unused:UNUSED_PAD src0_sel:DWORD src1_sel:WORD_1
	global_store_dword v[0:1], v3, off
.LBB8_1934:
	s_and_b32 vcc_lo, exec_lo, s10
	s_cbranch_vccz .LBB8_1939
; %bb.1935:
	s_cmp_eq_u32 s2, 44
	s_mov_b32 s0, -1
	s_cbranch_scc0 .LBB8_1939
; %bb.1936:
	v_cvt_f32_f64_e32 v3, v[8:9]
	v_mov_b32_e32 v4, 0xff
	s_mov_b32 s5, exec_lo
	v_bfe_u32 v5, v3, 23, 8
	v_cmpx_ne_u32_e32 0xff, v5
	s_cbranch_execz .LBB8_1938
; %bb.1937:
	v_and_b32_e32 v4, 0x400000, v3
	v_and_or_b32 v5, 0x3fffff, v3, v5
	v_lshrrev_b32_e32 v3, 23, v3
	v_cmp_ne_u32_e32 vcc_lo, 0, v4
	v_cmp_ne_u32_e64 s0, 0, v5
	s_and_b32 s0, vcc_lo, s0
	v_cndmask_b32_e64 v4, 0, 1, s0
	v_add_nc_u32_e32 v4, v3, v4
.LBB8_1938:
	s_or_b32 exec_lo, exec_lo, s5
	s_mov_b32 s0, 0
	s_mov_b32 s5, -1
	global_store_byte v[0:1], v4, off
.LBB8_1939:
	s_mov_b32 s10, 0
.LBB8_1940:
	s_and_b32 vcc_lo, exec_lo, s10
	s_cbranch_vccz .LBB8_1943
; %bb.1941:
	s_cmp_eq_u32 s2, 29
	s_mov_b32 s0, -1
	s_cbranch_scc0 .LBB8_1943
; %bb.1942:
	v_trunc_f64_e32 v[3:4], v[8:9]
	s_mov_b32 s0, 0
	s_mov_b32 s5, -1
	v_ldexp_f64 v[5:6], v[3:4], 0xffffffe0
	v_floor_f64_e32 v[5:6], v[5:6]
	v_fma_f64 v[3:4], 0xc1f00000, v[5:6], v[3:4]
	v_cvt_u32_f64_e32 v5, v[5:6]
	v_cvt_u32_f64_e32 v4, v[3:4]
	global_store_dwordx2 v[0:1], v[4:5], off
.LBB8_1943:
	s_mov_b32 s10, 0
.LBB8_1944:
	s_and_b32 vcc_lo, exec_lo, s10
	s_cbranch_vccz .LBB8_1960
; %bb.1945:
	s_cmp_lt_i32 s2, 27
	s_mov_b32 s5, -1
	s_cbranch_scc1 .LBB8_1951
; %bb.1946:
	v_cvt_u32_f64_e32 v3, v[8:9]
	s_cmp_gt_i32 s2, 27
	s_cbranch_scc0 .LBB8_1948
; %bb.1947:
	s_mov_b32 s5, 0
	global_store_dword v[0:1], v3, off
.LBB8_1948:
	s_andn2_b32 vcc_lo, exec_lo, s5
	s_cbranch_vccnz .LBB8_1950
; %bb.1949:
	global_store_short v[0:1], v3, off
.LBB8_1950:
	s_mov_b32 s5, 0
.LBB8_1951:
	s_andn2_b32 vcc_lo, exec_lo, s5
	s_cbranch_vccnz .LBB8_1959
; %bb.1952:
	v_cvt_f32_f64_e32 v3, v[8:9]
	v_mov_b32_e32 v5, 0x80
	s_mov_b32 s5, exec_lo
	v_and_b32_e32 v4, 0x7fffffff, v3
	v_cmpx_gt_u32_e32 0x43800000, v4
	s_cbranch_execz .LBB8_1958
; %bb.1953:
	v_cmp_lt_u32_e32 vcc_lo, 0x3bffffff, v4
	s_mov_b32 s10, 0
                                        ; implicit-def: $vgpr4
	s_and_saveexec_b32 s11, vcc_lo
	s_xor_b32 s11, exec_lo, s11
	s_cbranch_execz .LBB8_2135
; %bb.1954:
	v_bfe_u32 v4, v3, 20, 1
	s_mov_b32 s10, exec_lo
	v_add3_u32 v4, v3, v4, 0x487ffff
	v_lshrrev_b32_e32 v4, 20, v4
	s_andn2_saveexec_b32 s11, s11
	s_cbranch_execnz .LBB8_2136
.LBB8_1955:
	s_or_b32 exec_lo, exec_lo, s11
	v_mov_b32_e32 v5, 0
	s_and_saveexec_b32 s11, s10
.LBB8_1956:
	v_lshrrev_b32_e32 v3, 24, v3
	v_and_or_b32 v5, 0x80, v3, v4
.LBB8_1957:
	s_or_b32 exec_lo, exec_lo, s11
.LBB8_1958:
	s_or_b32 exec_lo, exec_lo, s5
	global_store_byte v[0:1], v5, off
.LBB8_1959:
	s_mov_b32 s5, -1
.LBB8_1960:
	s_mov_b32 s10, 0
.LBB8_1961:
	s_and_b32 vcc_lo, exec_lo, s10
	s_cbranch_vccz .LBB8_2001
; %bb.1962:
	s_cmp_gt_i32 s2, 22
	s_mov_b32 s3, -1
	s_cbranch_scc0 .LBB8_1994
; %bb.1963:
	s_cmp_lt_i32 s2, 24
	s_cbranch_scc1 .LBB8_1983
; %bb.1964:
	s_cmp_gt_i32 s2, 24
	s_cbranch_scc0 .LBB8_1972
; %bb.1965:
	v_cvt_f32_f64_e32 v3, v[8:9]
	v_mov_b32_e32 v5, 0x80
	s_mov_b32 s3, exec_lo
	v_and_b32_e32 v4, 0x7fffffff, v3
	v_cmpx_gt_u32_e32 0x47800000, v4
	s_cbranch_execz .LBB8_1971
; %bb.1966:
	v_cmp_lt_u32_e32 vcc_lo, 0x37ffffff, v4
	s_mov_b32 s5, 0
                                        ; implicit-def: $vgpr4
	s_and_saveexec_b32 s10, vcc_lo
	s_xor_b32 s10, exec_lo, s10
	s_cbranch_execz .LBB8_2138
; %bb.1967:
	v_bfe_u32 v4, v3, 21, 1
	s_mov_b32 s5, exec_lo
	v_add3_u32 v4, v3, v4, 0x88fffff
	v_lshrrev_b32_e32 v4, 21, v4
	s_andn2_saveexec_b32 s10, s10
	s_cbranch_execnz .LBB8_2139
.LBB8_1968:
	s_or_b32 exec_lo, exec_lo, s10
	v_mov_b32_e32 v5, 0
	s_and_saveexec_b32 s10, s5
.LBB8_1969:
	v_lshrrev_b32_e32 v3, 24, v3
	v_and_or_b32 v5, 0x80, v3, v4
.LBB8_1970:
	s_or_b32 exec_lo, exec_lo, s10
.LBB8_1971:
	s_or_b32 exec_lo, exec_lo, s3
	s_mov_b32 s3, 0
	global_store_byte v[0:1], v5, off
.LBB8_1972:
	s_and_b32 vcc_lo, exec_lo, s3
	s_cbranch_vccz .LBB8_1982
; %bb.1973:
	v_cvt_f32_f64_e32 v3, v[8:9]
	s_mov_b32 s3, exec_lo
                                        ; implicit-def: $vgpr4
	v_and_b32_e32 v5, 0x7fffffff, v3
	v_cmpx_gt_u32_e32 0x43f00000, v5
	s_xor_b32 s3, exec_lo, s3
	s_cbranch_execz .LBB8_1979
; %bb.1974:
	s_mov_b32 s5, exec_lo
                                        ; implicit-def: $vgpr4
	v_cmpx_lt_u32_e32 0x3c7fffff, v5
	s_xor_b32 s5, exec_lo, s5
; %bb.1975:
	v_bfe_u32 v4, v3, 20, 1
	v_add3_u32 v4, v3, v4, 0x407ffff
	v_and_b32_e32 v5, 0xff00000, v4
	v_lshrrev_b32_e32 v4, 20, v4
	v_cmp_ne_u32_e32 vcc_lo, 0x7f00000, v5
	v_cndmask_b32_e32 v4, 0x7e, v4, vcc_lo
; %bb.1976:
	s_andn2_saveexec_b32 s5, s5
; %bb.1977:
	v_add_f32_e64 v4, 0x46800000, |v3|
; %bb.1978:
	s_or_b32 exec_lo, exec_lo, s5
                                        ; implicit-def: $vgpr5
.LBB8_1979:
	s_andn2_saveexec_b32 s3, s3
; %bb.1980:
	v_mov_b32_e32 v4, 0x7f
	v_cmp_lt_u32_e32 vcc_lo, 0x7f800000, v5
	v_cndmask_b32_e32 v4, 0x7e, v4, vcc_lo
; %bb.1981:
	s_or_b32 exec_lo, exec_lo, s3
	v_lshrrev_b32_e32 v3, 24, v3
	v_and_or_b32 v3, 0x80, v3, v4
	global_store_byte v[0:1], v3, off
.LBB8_1982:
	s_mov_b32 s3, 0
.LBB8_1983:
	s_andn2_b32 vcc_lo, exec_lo, s3
	s_cbranch_vccnz .LBB8_1993
; %bb.1984:
	v_cvt_f32_f64_e32 v3, v[8:9]
	s_mov_b32 s3, exec_lo
                                        ; implicit-def: $vgpr4
	v_and_b32_e32 v5, 0x7fffffff, v3
	v_cmpx_gt_u32_e32 0x47800000, v5
	s_xor_b32 s3, exec_lo, s3
	s_cbranch_execz .LBB8_1990
; %bb.1985:
	s_mov_b32 s5, exec_lo
                                        ; implicit-def: $vgpr4
	v_cmpx_lt_u32_e32 0x387fffff, v5
	s_xor_b32 s5, exec_lo, s5
; %bb.1986:
	v_bfe_u32 v4, v3, 21, 1
	v_add3_u32 v4, v3, v4, 0x80fffff
	v_lshrrev_b32_e32 v4, 21, v4
; %bb.1987:
	s_andn2_saveexec_b32 s5, s5
; %bb.1988:
	v_add_f32_e64 v4, 0x43000000, |v3|
; %bb.1989:
	s_or_b32 exec_lo, exec_lo, s5
                                        ; implicit-def: $vgpr5
.LBB8_1990:
	s_andn2_saveexec_b32 s3, s3
; %bb.1991:
	v_mov_b32_e32 v4, 0x7f
	v_cmp_lt_u32_e32 vcc_lo, 0x7f800000, v5
	v_cndmask_b32_e32 v4, 0x7c, v4, vcc_lo
; %bb.1992:
	s_or_b32 exec_lo, exec_lo, s3
	v_lshrrev_b32_e32 v3, 24, v3
	v_and_or_b32 v3, 0x80, v3, v4
	global_store_byte v[0:1], v3, off
.LBB8_1993:
	s_mov_b32 s3, 0
	s_mov_b32 s5, -1
.LBB8_1994:
	s_andn2_b32 vcc_lo, exec_lo, s3
	s_mov_b32 s3, 0
	s_cbranch_vccnz .LBB8_2001
; %bb.1995:
	s_cmp_gt_i32 s2, 14
	s_mov_b32 s3, -1
	s_cbranch_scc0 .LBB8_1999
; %bb.1996:
	s_cmp_eq_u32 s2, 15
	s_mov_b32 s0, -1
	s_cbranch_scc0 .LBB8_1998
; %bb.1997:
	v_cvt_f32_f64_e32 v3, v[8:9]
	s_mov_b32 s0, 0
	s_mov_b32 s5, -1
	v_bfe_u32 v4, v3, 16, 1
	v_cmp_o_f32_e32 vcc_lo, v3, v3
	v_add3_u32 v3, v3, v4, 0x7fff
	v_mov_b32_e32 v4, 0x7fc0
	v_cndmask_b32_sdwa v3, v4, v3, vcc_lo dst_sel:DWORD dst_unused:UNUSED_PAD src0_sel:DWORD src1_sel:WORD_1
	global_store_short v[0:1], v3, off
.LBB8_1998:
	s_mov_b32 s3, 0
.LBB8_1999:
	s_and_b32 vcc_lo, exec_lo, s3
	s_mov_b32 s3, 0
	s_cbranch_vccz .LBB8_2001
; %bb.2000:
	s_cmp_lg_u32 s2, 11
	s_mov_b32 s3, -1
	s_cselect_b32 s0, -1, 0
.LBB8_2001:
	s_and_b32 vcc_lo, exec_lo, s0
	s_cbranch_vccnz .LBB8_2137
; %bb.2002:
	s_andn2_b32 vcc_lo, exec_lo, s3
	s_cbranch_vccnz .LBB8_2004
.LBB8_2003:
	v_cmp_neq_f64_e32 vcc_lo, 0, v[8:9]
	s_mov_b32 s5, -1
	v_cndmask_b32_e64 v3, 0, 1, vcc_lo
	global_store_byte v[0:1], v3, off
.LBB8_2004:
	s_mov_b32 s0, 0
	s_branch .LBB8_2006
.LBB8_2005:
	s_mov_b32 s0, -1
	s_mov_b32 s5, 0
.LBB8_2006:
	s_and_b32 vcc_lo, exec_lo, s0
	s_cbranch_vccz .LBB8_2045
; %bb.2007:
	s_and_b32 s0, 0xffff, s12
	s_mov_b32 s2, -1
	s_cmp_lt_i32 s0, 5
	s_cbranch_scc1 .LBB8_2028
; %bb.2008:
	s_cmp_lt_i32 s0, 8
	s_cbranch_scc1 .LBB8_2018
; %bb.2009:
	s_cmp_lt_i32 s0, 9
	s_cbranch_scc1 .LBB8_2015
; %bb.2010:
	s_cmp_gt_i32 s0, 9
	s_cbranch_scc0 .LBB8_2012
; %bb.2011:
	v_mov_b32_e32 v10, 0
	s_mov_b32 s2, 0
	v_mov_b32_e32 v11, v10
	global_store_dwordx4 v[0:1], v[8:11], off
.LBB8_2012:
	s_andn2_b32 vcc_lo, exec_lo, s2
	s_cbranch_vccnz .LBB8_2014
; %bb.2013:
	v_cvt_f32_f64_e32 v3, v[8:9]
	v_mov_b32_e32 v4, 0
	global_store_dwordx2 v[0:1], v[3:4], off
.LBB8_2014:
	s_mov_b32 s2, 0
.LBB8_2015:
	s_andn2_b32 vcc_lo, exec_lo, s2
	s_cbranch_vccnz .LBB8_2017
; %bb.2016:
	v_and_or_b32 v3, 0x1ff, v9, v8
	v_lshrrev_b32_e32 v4, 8, v9
	v_bfe_u32 v5, v9, 20, 11
	v_cmp_ne_u32_e32 vcc_lo, 0, v3
	v_sub_nc_u32_e32 v6, 0x3f1, v5
	v_add_nc_u32_e32 v5, 0xfffffc10, v5
	v_cndmask_b32_e64 v3, 0, 1, vcc_lo
	v_and_or_b32 v3, 0xffe, v4, v3
	v_med3_i32 v4, v6, 0, 13
	v_or_b32_e32 v6, 0x1000, v3
	v_lshrrev_b32_e32 v7, v4, v6
	v_lshlrev_b32_e32 v4, v4, v7
	v_cmp_ne_u32_e32 vcc_lo, v4, v6
	v_lshl_or_b32 v6, v5, 12, v3
	v_cndmask_b32_e64 v4, 0, 1, vcc_lo
	v_cmp_gt_i32_e32 vcc_lo, 1, v5
	v_or_b32_e32 v4, v7, v4
	v_cndmask_b32_e32 v4, v6, v4, vcc_lo
	v_and_b32_e32 v6, 7, v4
	v_lshrrev_b32_e32 v4, 2, v4
	v_cmp_lt_i32_e32 vcc_lo, 5, v6
	v_cndmask_b32_e64 v7, 0, 1, vcc_lo
	v_cmp_eq_u32_e32 vcc_lo, 3, v6
	v_cndmask_b32_e64 v6, 0, 1, vcc_lo
	v_cmp_ne_u32_e32 vcc_lo, 0, v3
	v_or_b32_e32 v6, v6, v7
	v_mov_b32_e32 v7, 0x7e00
	v_add_nc_u32_e32 v4, v4, v6
	v_cndmask_b32_e32 v3, 0x7c00, v7, vcc_lo
	v_cmp_gt_i32_e32 vcc_lo, 31, v5
	v_cndmask_b32_e32 v4, 0x7c00, v4, vcc_lo
	v_cmp_eq_u32_e32 vcc_lo, 0x40f, v5
	v_cndmask_b32_e32 v3, v4, v3, vcc_lo
	v_lshrrev_b32_e32 v4, 16, v9
	v_and_or_b32 v3, 0x8000, v4, v3
	v_and_b32_e32 v3, 0xffff, v3
	global_store_dword v[0:1], v3, off
.LBB8_2017:
	s_mov_b32 s2, 0
.LBB8_2018:
	s_andn2_b32 vcc_lo, exec_lo, s2
	s_cbranch_vccnz .LBB8_2027
; %bb.2019:
	s_cmp_lt_i32 s0, 6
	s_mov_b32 s2, -1
	s_cbranch_scc1 .LBB8_2025
; %bb.2020:
	s_cmp_gt_i32 s0, 6
	s_cbranch_scc0 .LBB8_2022
; %bb.2021:
	s_mov_b32 s2, 0
	global_store_dwordx2 v[0:1], v[8:9], off
.LBB8_2022:
	s_andn2_b32 vcc_lo, exec_lo, s2
	s_cbranch_vccnz .LBB8_2024
; %bb.2023:
	v_cvt_f32_f64_e32 v3, v[8:9]
	global_store_dword v[0:1], v3, off
.LBB8_2024:
	s_mov_b32 s2, 0
.LBB8_2025:
	s_andn2_b32 vcc_lo, exec_lo, s2
	s_cbranch_vccnz .LBB8_2027
; %bb.2026:
	v_and_or_b32 v3, 0x1ff, v9, v8
	v_lshrrev_b32_e32 v4, 8, v9
	v_bfe_u32 v5, v9, 20, 11
	v_cmp_ne_u32_e32 vcc_lo, 0, v3
	v_sub_nc_u32_e32 v6, 0x3f1, v5
	v_add_nc_u32_e32 v5, 0xfffffc10, v5
	v_cndmask_b32_e64 v3, 0, 1, vcc_lo
	v_and_or_b32 v3, 0xffe, v4, v3
	v_med3_i32 v4, v6, 0, 13
	v_or_b32_e32 v6, 0x1000, v3
	v_lshrrev_b32_e32 v7, v4, v6
	v_lshlrev_b32_e32 v4, v4, v7
	v_cmp_ne_u32_e32 vcc_lo, v4, v6
	v_lshl_or_b32 v6, v5, 12, v3
	v_cndmask_b32_e64 v4, 0, 1, vcc_lo
	v_cmp_gt_i32_e32 vcc_lo, 1, v5
	v_or_b32_e32 v4, v7, v4
	v_cndmask_b32_e32 v4, v6, v4, vcc_lo
	v_and_b32_e32 v6, 7, v4
	v_lshrrev_b32_e32 v4, 2, v4
	v_cmp_lt_i32_e32 vcc_lo, 5, v6
	v_cndmask_b32_e64 v7, 0, 1, vcc_lo
	v_cmp_eq_u32_e32 vcc_lo, 3, v6
	v_cndmask_b32_e64 v6, 0, 1, vcc_lo
	v_cmp_ne_u32_e32 vcc_lo, 0, v3
	v_or_b32_e32 v6, v6, v7
	v_mov_b32_e32 v7, 0x7e00
	v_add_nc_u32_e32 v4, v4, v6
	v_cndmask_b32_e32 v3, 0x7c00, v7, vcc_lo
	v_cmp_gt_i32_e32 vcc_lo, 31, v5
	v_cndmask_b32_e32 v4, 0x7c00, v4, vcc_lo
	v_cmp_eq_u32_e32 vcc_lo, 0x40f, v5
	v_cndmask_b32_e32 v3, v4, v3, vcc_lo
	v_lshrrev_b32_e32 v4, 16, v9
	v_and_or_b32 v3, 0x8000, v4, v3
	global_store_short v[0:1], v3, off
.LBB8_2027:
	s_mov_b32 s2, 0
.LBB8_2028:
	s_andn2_b32 vcc_lo, exec_lo, s2
	s_cbranch_vccnz .LBB8_2044
; %bb.2029:
	s_cmp_lt_i32 s0, 2
	s_mov_b32 s2, -1
	s_cbranch_scc1 .LBB8_2039
; %bb.2030:
	s_cmp_lt_i32 s0, 3
	s_cbranch_scc1 .LBB8_2036
; %bb.2031:
	s_cmp_gt_i32 s0, 3
	s_cbranch_scc0 .LBB8_2033
; %bb.2032:
	v_trunc_f64_e32 v[3:4], v[8:9]
	s_mov_b32 s2, 0
	v_ldexp_f64 v[5:6], v[3:4], 0xffffffe0
	v_floor_f64_e32 v[5:6], v[5:6]
	v_fma_f64 v[3:4], 0xc1f00000, v[5:6], v[3:4]
	v_cvt_i32_f64_e32 v5, v[5:6]
	v_cvt_u32_f64_e32 v4, v[3:4]
	global_store_dwordx2 v[0:1], v[4:5], off
.LBB8_2033:
	s_andn2_b32 vcc_lo, exec_lo, s2
	s_cbranch_vccnz .LBB8_2035
; %bb.2034:
	v_cvt_i32_f64_e32 v3, v[8:9]
	global_store_dword v[0:1], v3, off
.LBB8_2035:
	s_mov_b32 s2, 0
.LBB8_2036:
	s_andn2_b32 vcc_lo, exec_lo, s2
	s_cbranch_vccnz .LBB8_2038
; %bb.2037:
	v_cvt_i32_f64_e32 v3, v[8:9]
	global_store_short v[0:1], v3, off
.LBB8_2038:
	s_mov_b32 s2, 0
.LBB8_2039:
	s_andn2_b32 vcc_lo, exec_lo, s2
	s_cbranch_vccnz .LBB8_2044
; %bb.2040:
	s_cmp_gt_i32 s0, 0
	s_mov_b32 s0, -1
	s_cbranch_scc0 .LBB8_2042
; %bb.2041:
	v_cvt_i32_f64_e32 v3, v[8:9]
	s_mov_b32 s0, 0
	global_store_byte v[0:1], v3, off
.LBB8_2042:
	s_andn2_b32 vcc_lo, exec_lo, s0
	s_cbranch_vccnz .LBB8_2044
; %bb.2043:
	v_trunc_f64_e32 v[3:4], v[8:9]
	v_ldexp_f64 v[5:6], v[3:4], 0xffffffe0
	v_floor_f64_e32 v[5:6], v[5:6]
	v_fma_f64 v[3:4], 0xc1f00000, v[5:6], v[3:4]
	v_cvt_u32_f64_e32 v3, v[3:4]
	global_store_byte v[0:1], v3, off
.LBB8_2044:
	s_mov_b32 s5, -1
.LBB8_2045:
	s_andn2_b32 vcc_lo, exec_lo, s5
	s_cbranch_vccnz .LBB8_2122
; %bb.2046:
	v_add_nc_u32_e32 v0, s1, v2
	s_cmp_lt_i32 s12, 11
	v_ashrrev_i32_e32 v1, 31, v0
	v_add_co_u32 v0, vcc_lo, s8, v0
	v_add_co_ci_u32_e64 v1, null, s9, v1, vcc_lo
	s_cbranch_scc1 .LBB8_2123
; %bb.2047:
	s_and_b32 s1, 0xffff, s12
	s_mov_b32 s3, -1
	s_mov_b32 s2, 0
	s_cmp_gt_i32 s1, 25
	s_mov_b32 s0, 0
	s_cbranch_scc0 .LBB8_2080
; %bb.2048:
	s_cmp_gt_i32 s1, 28
	s_cbranch_scc0 .LBB8_2064
; %bb.2049:
	s_cmp_gt_i32 s1, 43
	;; [unrolled: 3-line block ×3, first 2 shown]
	s_cbranch_scc0 .LBB8_2054
; %bb.2051:
	s_cmp_eq_u32 s1, 46
	s_mov_b32 s0, -1
	s_cbranch_scc0 .LBB8_2053
; %bb.2052:
	v_cvt_f32_f64_e32 v2, v[12:13]
	s_mov_b32 s0, 0
	v_bfe_u32 v3, v2, 16, 1
	v_cmp_o_f32_e32 vcc_lo, v2, v2
	v_add3_u32 v2, v2, v3, 0x7fff
	v_mov_b32_e32 v3, 0x7fc0
	v_cndmask_b32_sdwa v2, v3, v2, vcc_lo dst_sel:DWORD dst_unused:UNUSED_PAD src0_sel:DWORD src1_sel:WORD_1
	global_store_dword v[0:1], v2, off
.LBB8_2053:
	s_mov_b32 s3, 0
.LBB8_2054:
	s_and_b32 vcc_lo, exec_lo, s3
	s_cbranch_vccz .LBB8_2059
; %bb.2055:
	s_cmp_eq_u32 s1, 44
	s_mov_b32 s0, -1
	s_cbranch_scc0 .LBB8_2059
; %bb.2056:
	v_cvt_f32_f64_e32 v2, v[12:13]
	v_mov_b32_e32 v3, 0xff
	s_mov_b32 s3, exec_lo
	v_bfe_u32 v4, v2, 23, 8
	v_cmpx_ne_u32_e32 0xff, v4
	s_cbranch_execz .LBB8_2058
; %bb.2057:
	v_and_b32_e32 v3, 0x400000, v2
	v_and_or_b32 v4, 0x3fffff, v2, v4
	v_lshrrev_b32_e32 v2, 23, v2
	v_cmp_ne_u32_e32 vcc_lo, 0, v3
	v_cmp_ne_u32_e64 s0, 0, v4
	s_and_b32 s0, vcc_lo, s0
	v_cndmask_b32_e64 v3, 0, 1, s0
	v_add_nc_u32_e32 v3, v2, v3
.LBB8_2058:
	s_or_b32 exec_lo, exec_lo, s3
	s_mov_b32 s0, 0
	global_store_byte v[0:1], v3, off
.LBB8_2059:
	s_mov_b32 s3, 0
.LBB8_2060:
	s_and_b32 vcc_lo, exec_lo, s3
	s_cbranch_vccz .LBB8_2063
; %bb.2061:
	s_cmp_eq_u32 s1, 29
	s_mov_b32 s0, -1
	s_cbranch_scc0 .LBB8_2063
; %bb.2062:
	v_trunc_f64_e32 v[2:3], v[12:13]
	s_mov_b32 s0, 0
	v_ldexp_f64 v[4:5], v[2:3], 0xffffffe0
	v_floor_f64_e32 v[4:5], v[4:5]
	v_fma_f64 v[2:3], 0xc1f00000, v[4:5], v[2:3]
	v_cvt_u32_f64_e32 v4, v[4:5]
	v_cvt_u32_f64_e32 v3, v[2:3]
	global_store_dwordx2 v[0:1], v[3:4], off
.LBB8_2063:
	s_mov_b32 s3, 0
.LBB8_2064:
	s_and_b32 vcc_lo, exec_lo, s3
	s_cbranch_vccz .LBB8_2079
; %bb.2065:
	s_cmp_lt_i32 s1, 27
	s_mov_b32 s3, -1
	s_cbranch_scc1 .LBB8_2071
; %bb.2066:
	v_cvt_u32_f64_e32 v2, v[12:13]
	s_cmp_gt_i32 s1, 27
	s_cbranch_scc0 .LBB8_2068
; %bb.2067:
	s_mov_b32 s3, 0
	global_store_dword v[0:1], v2, off
.LBB8_2068:
	s_andn2_b32 vcc_lo, exec_lo, s3
	s_cbranch_vccnz .LBB8_2070
; %bb.2069:
	global_store_short v[0:1], v2, off
.LBB8_2070:
	s_mov_b32 s3, 0
.LBB8_2071:
	s_andn2_b32 vcc_lo, exec_lo, s3
	s_cbranch_vccnz .LBB8_2079
; %bb.2072:
	v_cvt_f32_f64_e32 v2, v[12:13]
	v_mov_b32_e32 v4, 0x80
	s_mov_b32 s3, exec_lo
	v_and_b32_e32 v3, 0x7fffffff, v2
	v_cmpx_gt_u32_e32 0x43800000, v3
	s_cbranch_execz .LBB8_2078
; %bb.2073:
	v_cmp_lt_u32_e32 vcc_lo, 0x3bffffff, v3
	s_mov_b32 s5, 0
                                        ; implicit-def: $vgpr3
	s_and_saveexec_b32 s8, vcc_lo
	s_xor_b32 s8, exec_lo, s8
	s_cbranch_execz .LBB8_2140
; %bb.2074:
	v_bfe_u32 v3, v2, 20, 1
	s_mov_b32 s5, exec_lo
	v_add3_u32 v3, v2, v3, 0x487ffff
	v_lshrrev_b32_e32 v3, 20, v3
	s_andn2_saveexec_b32 s8, s8
	s_cbranch_execnz .LBB8_2141
.LBB8_2075:
	s_or_b32 exec_lo, exec_lo, s8
	v_mov_b32_e32 v4, 0
	s_and_saveexec_b32 s8, s5
.LBB8_2076:
	v_lshrrev_b32_e32 v2, 24, v2
	v_and_or_b32 v4, 0x80, v2, v3
.LBB8_2077:
	s_or_b32 exec_lo, exec_lo, s8
.LBB8_2078:
	s_or_b32 exec_lo, exec_lo, s3
	global_store_byte v[0:1], v4, off
.LBB8_2079:
	s_mov_b32 s3, 0
.LBB8_2080:
	s_and_b32 vcc_lo, exec_lo, s3
	s_cbranch_vccz .LBB8_2120
; %bb.2081:
	s_cmp_gt_i32 s1, 22
	s_mov_b32 s2, -1
	s_cbranch_scc0 .LBB8_2113
; %bb.2082:
	s_cmp_lt_i32 s1, 24
	s_cbranch_scc1 .LBB8_2102
; %bb.2083:
	s_cmp_gt_i32 s1, 24
	s_cbranch_scc0 .LBB8_2091
; %bb.2084:
	v_cvt_f32_f64_e32 v2, v[12:13]
	v_mov_b32_e32 v4, 0x80
	s_mov_b32 s2, exec_lo
	v_and_b32_e32 v3, 0x7fffffff, v2
	v_cmpx_gt_u32_e32 0x47800000, v3
	s_cbranch_execz .LBB8_2090
; %bb.2085:
	v_cmp_lt_u32_e32 vcc_lo, 0x37ffffff, v3
	s_mov_b32 s3, 0
                                        ; implicit-def: $vgpr3
	s_and_saveexec_b32 s5, vcc_lo
	s_xor_b32 s5, exec_lo, s5
	s_cbranch_execz .LBB8_2143
; %bb.2086:
	v_bfe_u32 v3, v2, 21, 1
	s_mov_b32 s3, exec_lo
	v_add3_u32 v3, v2, v3, 0x88fffff
	v_lshrrev_b32_e32 v3, 21, v3
	s_andn2_saveexec_b32 s5, s5
	s_cbranch_execnz .LBB8_2144
.LBB8_2087:
	s_or_b32 exec_lo, exec_lo, s5
	v_mov_b32_e32 v4, 0
	s_and_saveexec_b32 s5, s3
.LBB8_2088:
	v_lshrrev_b32_e32 v2, 24, v2
	v_and_or_b32 v4, 0x80, v2, v3
.LBB8_2089:
	s_or_b32 exec_lo, exec_lo, s5
.LBB8_2090:
	s_or_b32 exec_lo, exec_lo, s2
	s_mov_b32 s2, 0
	global_store_byte v[0:1], v4, off
.LBB8_2091:
	s_and_b32 vcc_lo, exec_lo, s2
	s_cbranch_vccz .LBB8_2101
; %bb.2092:
	v_cvt_f32_f64_e32 v2, v[12:13]
	s_mov_b32 s2, exec_lo
                                        ; implicit-def: $vgpr3
	v_and_b32_e32 v4, 0x7fffffff, v2
	v_cmpx_gt_u32_e32 0x43f00000, v4
	s_xor_b32 s2, exec_lo, s2
	s_cbranch_execz .LBB8_2098
; %bb.2093:
	s_mov_b32 s3, exec_lo
                                        ; implicit-def: $vgpr3
	v_cmpx_lt_u32_e32 0x3c7fffff, v4
	s_xor_b32 s3, exec_lo, s3
; %bb.2094:
	v_bfe_u32 v3, v2, 20, 1
	v_add3_u32 v3, v2, v3, 0x407ffff
	v_and_b32_e32 v4, 0xff00000, v3
	v_lshrrev_b32_e32 v3, 20, v3
	v_cmp_ne_u32_e32 vcc_lo, 0x7f00000, v4
	v_cndmask_b32_e32 v3, 0x7e, v3, vcc_lo
; %bb.2095:
	s_andn2_saveexec_b32 s3, s3
; %bb.2096:
	v_add_f32_e64 v3, 0x46800000, |v2|
; %bb.2097:
	s_or_b32 exec_lo, exec_lo, s3
                                        ; implicit-def: $vgpr4
.LBB8_2098:
	s_andn2_saveexec_b32 s2, s2
; %bb.2099:
	v_mov_b32_e32 v3, 0x7f
	v_cmp_lt_u32_e32 vcc_lo, 0x7f800000, v4
	v_cndmask_b32_e32 v3, 0x7e, v3, vcc_lo
; %bb.2100:
	s_or_b32 exec_lo, exec_lo, s2
	v_lshrrev_b32_e32 v2, 24, v2
	v_and_or_b32 v2, 0x80, v2, v3
	global_store_byte v[0:1], v2, off
.LBB8_2101:
	s_mov_b32 s2, 0
.LBB8_2102:
	s_andn2_b32 vcc_lo, exec_lo, s2
	s_cbranch_vccnz .LBB8_2112
; %bb.2103:
	v_cvt_f32_f64_e32 v2, v[12:13]
	s_mov_b32 s2, exec_lo
                                        ; implicit-def: $vgpr3
	v_and_b32_e32 v4, 0x7fffffff, v2
	v_cmpx_gt_u32_e32 0x47800000, v4
	s_xor_b32 s2, exec_lo, s2
	s_cbranch_execz .LBB8_2109
; %bb.2104:
	s_mov_b32 s3, exec_lo
                                        ; implicit-def: $vgpr3
	v_cmpx_lt_u32_e32 0x387fffff, v4
	s_xor_b32 s3, exec_lo, s3
; %bb.2105:
	v_bfe_u32 v3, v2, 21, 1
	v_add3_u32 v3, v2, v3, 0x80fffff
	v_lshrrev_b32_e32 v3, 21, v3
; %bb.2106:
	s_andn2_saveexec_b32 s3, s3
; %bb.2107:
	v_add_f32_e64 v3, 0x43000000, |v2|
; %bb.2108:
	s_or_b32 exec_lo, exec_lo, s3
                                        ; implicit-def: $vgpr4
.LBB8_2109:
	s_andn2_saveexec_b32 s2, s2
; %bb.2110:
	v_mov_b32_e32 v3, 0x7f
	v_cmp_lt_u32_e32 vcc_lo, 0x7f800000, v4
	v_cndmask_b32_e32 v3, 0x7c, v3, vcc_lo
; %bb.2111:
	s_or_b32 exec_lo, exec_lo, s2
	v_lshrrev_b32_e32 v2, 24, v2
	v_and_or_b32 v2, 0x80, v2, v3
	global_store_byte v[0:1], v2, off
.LBB8_2112:
	s_mov_b32 s2, 0
.LBB8_2113:
	s_andn2_b32 vcc_lo, exec_lo, s2
	s_mov_b32 s2, 0
	s_cbranch_vccnz .LBB8_2120
; %bb.2114:
	s_cmp_gt_i32 s1, 14
	s_mov_b32 s2, -1
	s_cbranch_scc0 .LBB8_2118
; %bb.2115:
	s_cmp_eq_u32 s1, 15
	s_mov_b32 s0, -1
	s_cbranch_scc0 .LBB8_2117
; %bb.2116:
	v_cvt_f32_f64_e32 v2, v[12:13]
	s_mov_b32 s0, 0
	v_bfe_u32 v3, v2, 16, 1
	v_cmp_o_f32_e32 vcc_lo, v2, v2
	v_add3_u32 v2, v2, v3, 0x7fff
	v_mov_b32_e32 v3, 0x7fc0
	v_cndmask_b32_sdwa v2, v3, v2, vcc_lo dst_sel:DWORD dst_unused:UNUSED_PAD src0_sel:DWORD src1_sel:WORD_1
	global_store_short v[0:1], v2, off
.LBB8_2117:
	s_mov_b32 s2, 0
.LBB8_2118:
	s_and_b32 vcc_lo, exec_lo, s2
	s_mov_b32 s2, 0
	s_cbranch_vccz .LBB8_2120
; %bb.2119:
	s_cmp_lg_u32 s1, 11
	s_mov_b32 s2, -1
	s_cselect_b32 s0, -1, 0
.LBB8_2120:
	s_and_b32 vcc_lo, exec_lo, s0
	s_cbranch_vccnz .LBB8_2142
.LBB8_2121:
	s_mov_b32 s0, 0
	s_branch .LBB8_1723
.LBB8_2122:
	s_mov_b32 s0, 0
	s_mov_b32 s2, 0
                                        ; implicit-def: $sgpr12
                                        ; implicit-def: $vgpr0_vgpr1
	s_branch .LBB8_1723
.LBB8_2123:
	s_mov_b32 s2, 0
	s_mov_b32 s0, -1
	s_branch .LBB8_1723
.LBB8_2124:
	s_or_b32 s4, s4, exec_lo
	s_trap 2
	s_cbranch_execz .LBB8_1580
	s_branch .LBB8_1581
.LBB8_2125:
	s_andn2_saveexec_b32 s11, s11
	s_cbranch_execz .LBB8_1672
.LBB8_2126:
	v_add_f32_e64 v3, 0x46000000, |v2|
	s_andn2_b32 s10, s10, exec_lo
	v_and_b32_e32 v3, 0xff, v3
	v_cmp_ne_u32_e32 vcc_lo, 0, v3
	s_and_b32 s13, vcc_lo, exec_lo
	s_or_b32 s10, s10, s13
	s_or_b32 exec_lo, exec_lo, s11
	v_mov_b32_e32 v11, 0
	s_and_saveexec_b32 s11, s10
	s_cbranch_execnz .LBB8_1673
	s_branch .LBB8_1674
.LBB8_2127:
	s_or_b32 s4, s4, exec_lo
	s_trap 2
	s_cbranch_execz .LBB8_1720
	s_branch .LBB8_1721
.LBB8_2128:
	s_andn2_saveexec_b32 s10, s10
	s_cbranch_execz .LBB8_1685
.LBB8_2129:
	v_add_f32_e64 v3, 0x42800000, |v2|
	s_andn2_b32 s5, s5, exec_lo
	v_and_b32_e32 v3, 0xff, v3
	v_cmp_ne_u32_e32 vcc_lo, 0, v3
	s_and_b32 s11, vcc_lo, exec_lo
	s_or_b32 s5, s5, s11
	s_or_b32 exec_lo, exec_lo, s10
	v_mov_b32_e32 v11, 0
	s_and_saveexec_b32 s10, s5
	s_cbranch_execnz .LBB8_1686
	s_branch .LBB8_1687
.LBB8_2130:
	s_andn2_saveexec_b32 s11, s11
	s_cbranch_execz .LBB8_1836
.LBB8_2131:
	v_add_f32_e64 v6, 0x46000000, |v3|
	s_andn2_b32 s10, s10, exec_lo
	v_and_b32_e32 v6, 0xff, v6
	v_cmp_ne_u32_e32 vcc_lo, 0, v6
	s_and_b32 s13, vcc_lo, exec_lo
	s_or_b32 s10, s10, s13
	s_or_b32 exec_lo, exec_lo, s11
	v_mov_b32_e32 v7, 0
	s_and_saveexec_b32 s11, s10
	s_cbranch_execnz .LBB8_1837
	s_branch .LBB8_1838
.LBB8_2132:
	s_or_b32 s4, s4, exec_lo
	s_trap 2
	s_cbranch_execz .LBB8_1884
	s_branch .LBB8_1885
.LBB8_2133:
	s_andn2_saveexec_b32 s10, s10
	s_cbranch_execz .LBB8_1849
.LBB8_2134:
	v_add_f32_e64 v6, 0x42800000, |v3|
	s_andn2_b32 s5, s5, exec_lo
	v_and_b32_e32 v6, 0xff, v6
	v_cmp_ne_u32_e32 vcc_lo, 0, v6
	s_and_b32 s11, vcc_lo, exec_lo
	s_or_b32 s5, s5, s11
	s_or_b32 exec_lo, exec_lo, s10
	v_mov_b32_e32 v7, 0
	s_and_saveexec_b32 s10, s5
	s_cbranch_execnz .LBB8_1850
	s_branch .LBB8_1851
.LBB8_2135:
	s_andn2_saveexec_b32 s11, s11
	s_cbranch_execz .LBB8_1955
.LBB8_2136:
	v_add_f32_e64 v4, 0x46000000, |v3|
	s_andn2_b32 s10, s10, exec_lo
	v_and_b32_e32 v4, 0xff, v4
	v_cmp_ne_u32_e32 vcc_lo, 0, v4
	s_and_b32 s13, vcc_lo, exec_lo
	s_or_b32 s10, s10, s13
	s_or_b32 exec_lo, exec_lo, s11
	v_mov_b32_e32 v5, 0
	s_and_saveexec_b32 s11, s10
	s_cbranch_execnz .LBB8_1956
	s_branch .LBB8_1957
.LBB8_2137:
	s_or_b32 s4, s4, exec_lo
	s_trap 2
	s_cbranch_execz .LBB8_2003
	s_branch .LBB8_2004
.LBB8_2138:
	s_andn2_saveexec_b32 s10, s10
	s_cbranch_execz .LBB8_1968
.LBB8_2139:
	v_add_f32_e64 v4, 0x42800000, |v3|
	s_andn2_b32 s5, s5, exec_lo
	v_and_b32_e32 v4, 0xff, v4
	v_cmp_ne_u32_e32 vcc_lo, 0, v4
	s_and_b32 s11, vcc_lo, exec_lo
	s_or_b32 s5, s5, s11
	s_or_b32 exec_lo, exec_lo, s10
	v_mov_b32_e32 v5, 0
	s_and_saveexec_b32 s10, s5
	s_cbranch_execnz .LBB8_1969
	s_branch .LBB8_1970
.LBB8_2140:
	s_andn2_saveexec_b32 s8, s8
	s_cbranch_execz .LBB8_2075
.LBB8_2141:
	v_add_f32_e64 v3, 0x46000000, |v2|
	s_andn2_b32 s5, s5, exec_lo
	v_and_b32_e32 v3, 0xff, v3
	v_cmp_ne_u32_e32 vcc_lo, 0, v3
	s_and_b32 s9, vcc_lo, exec_lo
	s_or_b32 s5, s5, s9
	s_or_b32 exec_lo, exec_lo, s8
	v_mov_b32_e32 v4, 0
	s_and_saveexec_b32 s8, s5
	s_cbranch_execnz .LBB8_2076
	s_branch .LBB8_2077
.LBB8_2142:
	s_mov_b32 s2, 0
	s_or_b32 s4, s4, exec_lo
	s_trap 2
	s_branch .LBB8_2121
.LBB8_2143:
	s_andn2_saveexec_b32 s5, s5
	s_cbranch_execz .LBB8_2087
.LBB8_2144:
	v_add_f32_e64 v3, 0x42800000, |v2|
	s_andn2_b32 s3, s3, exec_lo
	v_and_b32_e32 v3, 0xff, v3
	v_cmp_ne_u32_e32 vcc_lo, 0, v3
	s_and_b32 s8, vcc_lo, exec_lo
	s_or_b32 s3, s3, s8
	s_or_b32 exec_lo, exec_lo, s5
	v_mov_b32_e32 v4, 0
	s_and_saveexec_b32 s5, s3
	s_cbranch_execnz .LBB8_2088
	s_branch .LBB8_2089
	.section	.rodata,"a",@progbits
	.p2align	6, 0x0
	.amdhsa_kernel _ZN2at6native32elementwise_kernel_manual_unrollILi128ELi4EZNS0_15gpu_kernel_implIZZZNS0_12_GLOBAL__N_130modified_bessel_i1_kernel_cudaERNS_18TensorIteratorBaseEENKUlvE_clEvENKUlvE_clEvEUldE_EEvS5_RKT_EUlibE_EEviT1_
		.amdhsa_group_segment_fixed_size 0
		.amdhsa_private_segment_fixed_size 0
		.amdhsa_kernarg_size 40
		.amdhsa_user_sgpr_count 6
		.amdhsa_user_sgpr_private_segment_buffer 1
		.amdhsa_user_sgpr_dispatch_ptr 0
		.amdhsa_user_sgpr_queue_ptr 0
		.amdhsa_user_sgpr_kernarg_segment_ptr 1
		.amdhsa_user_sgpr_dispatch_id 0
		.amdhsa_user_sgpr_flat_scratch_init 0
		.amdhsa_user_sgpr_private_segment_size 0
		.amdhsa_wavefront_size32 1
		.amdhsa_uses_dynamic_stack 0
		.amdhsa_system_sgpr_private_segment_wavefront_offset 0
		.amdhsa_system_sgpr_workgroup_id_x 1
		.amdhsa_system_sgpr_workgroup_id_y 0
		.amdhsa_system_sgpr_workgroup_id_z 0
		.amdhsa_system_sgpr_workgroup_info 0
		.amdhsa_system_vgpr_workitem_id 0
		.amdhsa_next_free_vgpr 21
		.amdhsa_next_free_sgpr 26
		.amdhsa_reserve_vcc 1
		.amdhsa_reserve_flat_scratch 0
		.amdhsa_float_round_mode_32 0
		.amdhsa_float_round_mode_16_64 0
		.amdhsa_float_denorm_mode_32 3
		.amdhsa_float_denorm_mode_16_64 3
		.amdhsa_dx10_clamp 1
		.amdhsa_ieee_mode 1
		.amdhsa_fp16_overflow 0
		.amdhsa_workgroup_processor_mode 1
		.amdhsa_memory_ordered 1
		.amdhsa_forward_progress 1
		.amdhsa_shared_vgpr_count 0
		.amdhsa_exception_fp_ieee_invalid_op 0
		.amdhsa_exception_fp_denorm_src 0
		.amdhsa_exception_fp_ieee_div_zero 0
		.amdhsa_exception_fp_ieee_overflow 0
		.amdhsa_exception_fp_ieee_underflow 0
		.amdhsa_exception_fp_ieee_inexact 0
		.amdhsa_exception_int_div_zero 0
	.end_amdhsa_kernel
	.section	.text._ZN2at6native32elementwise_kernel_manual_unrollILi128ELi4EZNS0_15gpu_kernel_implIZZZNS0_12_GLOBAL__N_130modified_bessel_i1_kernel_cudaERNS_18TensorIteratorBaseEENKUlvE_clEvENKUlvE_clEvEUldE_EEvS5_RKT_EUlibE_EEviT1_,"axG",@progbits,_ZN2at6native32elementwise_kernel_manual_unrollILi128ELi4EZNS0_15gpu_kernel_implIZZZNS0_12_GLOBAL__N_130modified_bessel_i1_kernel_cudaERNS_18TensorIteratorBaseEENKUlvE_clEvENKUlvE_clEvEUldE_EEvS5_RKT_EUlibE_EEviT1_,comdat
.Lfunc_end8:
	.size	_ZN2at6native32elementwise_kernel_manual_unrollILi128ELi4EZNS0_15gpu_kernel_implIZZZNS0_12_GLOBAL__N_130modified_bessel_i1_kernel_cudaERNS_18TensorIteratorBaseEENKUlvE_clEvENKUlvE_clEvEUldE_EEvS5_RKT_EUlibE_EEviT1_, .Lfunc_end8-_ZN2at6native32elementwise_kernel_manual_unrollILi128ELi4EZNS0_15gpu_kernel_implIZZZNS0_12_GLOBAL__N_130modified_bessel_i1_kernel_cudaERNS_18TensorIteratorBaseEENKUlvE_clEvENKUlvE_clEvEUldE_EEvS5_RKT_EUlibE_EEviT1_
                                        ; -- End function
	.set _ZN2at6native32elementwise_kernel_manual_unrollILi128ELi4EZNS0_15gpu_kernel_implIZZZNS0_12_GLOBAL__N_130modified_bessel_i1_kernel_cudaERNS_18TensorIteratorBaseEENKUlvE_clEvENKUlvE_clEvEUldE_EEvS5_RKT_EUlibE_EEviT1_.num_vgpr, 21
	.set _ZN2at6native32elementwise_kernel_manual_unrollILi128ELi4EZNS0_15gpu_kernel_implIZZZNS0_12_GLOBAL__N_130modified_bessel_i1_kernel_cudaERNS_18TensorIteratorBaseEENKUlvE_clEvENKUlvE_clEvEUldE_EEvS5_RKT_EUlibE_EEviT1_.num_agpr, 0
	.set _ZN2at6native32elementwise_kernel_manual_unrollILi128ELi4EZNS0_15gpu_kernel_implIZZZNS0_12_GLOBAL__N_130modified_bessel_i1_kernel_cudaERNS_18TensorIteratorBaseEENKUlvE_clEvENKUlvE_clEvEUldE_EEvS5_RKT_EUlibE_EEviT1_.numbered_sgpr, 26
	.set _ZN2at6native32elementwise_kernel_manual_unrollILi128ELi4EZNS0_15gpu_kernel_implIZZZNS0_12_GLOBAL__N_130modified_bessel_i1_kernel_cudaERNS_18TensorIteratorBaseEENKUlvE_clEvENKUlvE_clEvEUldE_EEvS5_RKT_EUlibE_EEviT1_.num_named_barrier, 0
	.set _ZN2at6native32elementwise_kernel_manual_unrollILi128ELi4EZNS0_15gpu_kernel_implIZZZNS0_12_GLOBAL__N_130modified_bessel_i1_kernel_cudaERNS_18TensorIteratorBaseEENKUlvE_clEvENKUlvE_clEvEUldE_EEvS5_RKT_EUlibE_EEviT1_.private_seg_size, 0
	.set _ZN2at6native32elementwise_kernel_manual_unrollILi128ELi4EZNS0_15gpu_kernel_implIZZZNS0_12_GLOBAL__N_130modified_bessel_i1_kernel_cudaERNS_18TensorIteratorBaseEENKUlvE_clEvENKUlvE_clEvEUldE_EEvS5_RKT_EUlibE_EEviT1_.uses_vcc, 1
	.set _ZN2at6native32elementwise_kernel_manual_unrollILi128ELi4EZNS0_15gpu_kernel_implIZZZNS0_12_GLOBAL__N_130modified_bessel_i1_kernel_cudaERNS_18TensorIteratorBaseEENKUlvE_clEvENKUlvE_clEvEUldE_EEvS5_RKT_EUlibE_EEviT1_.uses_flat_scratch, 0
	.set _ZN2at6native32elementwise_kernel_manual_unrollILi128ELi4EZNS0_15gpu_kernel_implIZZZNS0_12_GLOBAL__N_130modified_bessel_i1_kernel_cudaERNS_18TensorIteratorBaseEENKUlvE_clEvENKUlvE_clEvEUldE_EEvS5_RKT_EUlibE_EEviT1_.has_dyn_sized_stack, 0
	.set _ZN2at6native32elementwise_kernel_manual_unrollILi128ELi4EZNS0_15gpu_kernel_implIZZZNS0_12_GLOBAL__N_130modified_bessel_i1_kernel_cudaERNS_18TensorIteratorBaseEENKUlvE_clEvENKUlvE_clEvEUldE_EEvS5_RKT_EUlibE_EEviT1_.has_recursion, 0
	.set _ZN2at6native32elementwise_kernel_manual_unrollILi128ELi4EZNS0_15gpu_kernel_implIZZZNS0_12_GLOBAL__N_130modified_bessel_i1_kernel_cudaERNS_18TensorIteratorBaseEENKUlvE_clEvENKUlvE_clEvEUldE_EEvS5_RKT_EUlibE_EEviT1_.has_indirect_call, 0
	.section	.AMDGPU.csdata,"",@progbits
; Kernel info:
; codeLenInByte = 60032
; TotalNumSgprs: 28
; NumVgprs: 21
; ScratchSize: 0
; MemoryBound: 1
; FloatMode: 240
; IeeeMode: 1
; LDSByteSize: 0 bytes/workgroup (compile time only)
; SGPRBlocks: 0
; VGPRBlocks: 2
; NumSGPRsForWavesPerEU: 28
; NumVGPRsForWavesPerEU: 21
; Occupancy: 16
; WaveLimiterHint : 0
; COMPUTE_PGM_RSRC2:SCRATCH_EN: 0
; COMPUTE_PGM_RSRC2:USER_SGPR: 6
; COMPUTE_PGM_RSRC2:TRAP_HANDLER: 0
; COMPUTE_PGM_RSRC2:TGID_X_EN: 1
; COMPUTE_PGM_RSRC2:TGID_Y_EN: 0
; COMPUTE_PGM_RSRC2:TGID_Z_EN: 0
; COMPUTE_PGM_RSRC2:TIDIG_COMP_CNT: 0
	.section	.text._ZN2at6native32elementwise_kernel_manual_unrollILi128ELi4EZNS0_15gpu_kernel_implIZZZNS0_12_GLOBAL__N_130modified_bessel_i1_kernel_cudaERNS_18TensorIteratorBaseEENKUlvE_clEvENKUlvE_clEvEUldE_EEvS5_RKT_EUlibE0_EEviT1_,"axG",@progbits,_ZN2at6native32elementwise_kernel_manual_unrollILi128ELi4EZNS0_15gpu_kernel_implIZZZNS0_12_GLOBAL__N_130modified_bessel_i1_kernel_cudaERNS_18TensorIteratorBaseEENKUlvE_clEvENKUlvE_clEvEUldE_EEvS5_RKT_EUlibE0_EEviT1_,comdat
	.globl	_ZN2at6native32elementwise_kernel_manual_unrollILi128ELi4EZNS0_15gpu_kernel_implIZZZNS0_12_GLOBAL__N_130modified_bessel_i1_kernel_cudaERNS_18TensorIteratorBaseEENKUlvE_clEvENKUlvE_clEvEUldE_EEvS5_RKT_EUlibE0_EEviT1_ ; -- Begin function _ZN2at6native32elementwise_kernel_manual_unrollILi128ELi4EZNS0_15gpu_kernel_implIZZZNS0_12_GLOBAL__N_130modified_bessel_i1_kernel_cudaERNS_18TensorIteratorBaseEENKUlvE_clEvENKUlvE_clEvEUldE_EEvS5_RKT_EUlibE0_EEviT1_
	.p2align	8
	.type	_ZN2at6native32elementwise_kernel_manual_unrollILi128ELi4EZNS0_15gpu_kernel_implIZZZNS0_12_GLOBAL__N_130modified_bessel_i1_kernel_cudaERNS_18TensorIteratorBaseEENKUlvE_clEvENKUlvE_clEvEUldE_EEvS5_RKT_EUlibE0_EEviT1_,@function
_ZN2at6native32elementwise_kernel_manual_unrollILi128ELi4EZNS0_15gpu_kernel_implIZZZNS0_12_GLOBAL__N_130modified_bessel_i1_kernel_cudaERNS_18TensorIteratorBaseEENKUlvE_clEvENKUlvE_clEvEUldE_EEvS5_RKT_EUlibE0_EEviT1_: ; @_ZN2at6native32elementwise_kernel_manual_unrollILi128ELi4EZNS0_15gpu_kernel_implIZZZNS0_12_GLOBAL__N_130modified_bessel_i1_kernel_cudaERNS_18TensorIteratorBaseEENKUlvE_clEvENKUlvE_clEvEUldE_EEvS5_RKT_EUlibE0_EEviT1_
; %bb.0:
	s_clause 0x1
	s_load_dword s24, s[4:5], 0x8
	s_load_dword s33, s[4:5], 0x0
	v_lshl_or_b32 v11, s6, 9, v0
	s_add_u32 s2, s4, 8
	s_addc_u32 s3, s5, 0
	s_mov_b32 s1, -1
	s_mov_b32 s26, 0
	v_or_b32_e32 v5, 0x180, v11
	s_mov_b32 s12, 0
	s_mov_b32 s0, exec_lo
	s_waitcnt lgkmcnt(0)
	s_add_i32 s25, s24, -1
	s_cmp_gt_u32 s25, 1
	s_cselect_b32 s27, -1, 0
	v_cmpx_le_i32_e64 s33, v5
	s_xor_b32 s28, exec_lo, s0
	s_cbranch_execz .LBB9_1137
; %bb.1:
	v_mov_b32_e32 v0, 0
	s_clause 0x3
	s_load_dwordx4 s[16:19], s[2:3], 0x4
	s_load_dwordx2 s[6:7], s[2:3], 0x14
	s_load_dwordx4 s[12:15], s[2:3], 0xc4
	s_load_dwordx4 s[8:11], s[2:3], 0x148
	s_cmp_lg_u32 s24, 0
	s_mov_b32 s39, 0
	s_cselect_b32 s34, -1, 0
	global_load_ushort v0, v0, s[2:3] offset:345
	s_add_u32 s20, s2, 0xc4
	s_addc_u32 s21, s3, 0
	s_min_u32 s35, s25, 15
	s_cmp_gt_u32 s24, 1
	s_mov_b32 s37, 0
	s_cselect_b32 s31, -1, 0
	s_mov_b32 s36, 0
	s_mov_b32 s38, exec_lo
	s_waitcnt vmcnt(0)
	v_readfirstlane_b32 s29, v0
	s_and_b32 s0, 0xffff, s29
	s_lshr_b32 s30, s0, 8
	v_cmpx_gt_i32_e64 s33, v11
	s_cbranch_execz .LBB9_278
; %bb.2:
	s_andn2_b32 vcc_lo, exec_lo, s27
	s_cbranch_vccnz .LBB9_7
; %bb.3:
	s_andn2_b32 vcc_lo, exec_lo, s34
	s_cbranch_vccnz .LBB9_8
; %bb.4:
	s_add_i32 s37, s35, 1
	s_cmp_eq_u32 s25, 2
	s_cbranch_scc1 .LBB9_9
; %bb.5:
	v_mov_b32_e32 v0, 0
	v_mov_b32_e32 v2, 0
	;; [unrolled: 1-line block ×3, first 2 shown]
	s_and_b32 s36, s37, 28
	s_mov_b32 s40, 0
	s_mov_b64 s[0:1], s[2:3]
	s_mov_b64 s[22:23], s[20:21]
.LBB9_6:                                ; =>This Inner Loop Header: Depth=1
	s_clause 0x1
	s_load_dwordx8 s[44:51], s[0:1], 0x4
	s_load_dwordx4 s[60:63], s[0:1], 0x24
	s_load_dwordx8 s[52:59], s[22:23], 0x0
	s_add_u32 s0, s0, 48
	s_addc_u32 s1, s1, 0
	s_add_i32 s40, s40, 4
	s_add_u32 s22, s22, 32
	s_addc_u32 s23, s23, 0
	s_cmp_lg_u32 s36, s40
	s_waitcnt lgkmcnt(0)
	v_mul_hi_u32 v3, s45, v1
	v_add_nc_u32_e32 v3, v1, v3
	v_lshrrev_b32_e32 v3, s46, v3
	v_mul_hi_u32 v4, s48, v3
	v_mul_lo_u32 v6, v3, s44
	v_add_nc_u32_e32 v4, v3, v4
	v_sub_nc_u32_e32 v1, v1, v6
	v_lshrrev_b32_e32 v4, s49, v4
	v_mul_lo_u32 v6, v1, s52
	v_mul_lo_u32 v8, v1, s53
	v_mul_hi_u32 v5, s51, v4
	v_add_nc_u32_e32 v5, v4, v5
	v_lshrrev_b32_e32 v5, s60, v5
	v_mul_hi_u32 v7, s62, v5
	v_mul_lo_u32 v9, v5, s50
	v_add_nc_u32_e32 v1, v5, v7
	v_mul_lo_u32 v7, v4, s47
	v_sub_nc_u32_e32 v4, v4, v9
	v_lshrrev_b32_e32 v1, s63, v1
	v_mul_lo_u32 v9, v4, s56
	v_mul_lo_u32 v4, v4, s57
	v_sub_nc_u32_e32 v3, v3, v7
	v_mul_lo_u32 v10, v1, s61
	v_mul_lo_u32 v7, v3, s54
	v_mul_lo_u32 v3, v3, s55
	v_sub_nc_u32_e32 v5, v5, v10
	v_add3_u32 v2, v6, v2, v7
	v_mul_lo_u32 v10, v5, s58
	v_mul_lo_u32 v5, v5, s59
	v_add3_u32 v0, v8, v0, v3
	v_add3_u32 v2, v9, v2, v10
	;; [unrolled: 1-line block ×3, first 2 shown]
	s_cbranch_scc1 .LBB9_6
	s_branch .LBB9_10
.LBB9_7:
                                        ; implicit-def: $vgpr2
                                        ; implicit-def: $vgpr0
	s_branch .LBB9_14
.LBB9_8:
	v_mov_b32_e32 v2, 0
	v_mov_b32_e32 v0, 0
	s_branch .LBB9_13
.LBB9_9:
	v_mov_b32_e32 v2, 0
	v_mov_b32_e32 v0, 0
	;; [unrolled: 1-line block ×3, first 2 shown]
.LBB9_10:
	s_and_b32 s37, s37, 3
	s_cmp_eq_u32 s37, 0
	s_cbranch_scc1 .LBB9_13
; %bb.11:
	s_lshl_b32 s0, s36, 3
	s_mul_i32 s22, s36, 12
	s_add_u32 s0, s2, s0
	s_addc_u32 s1, s3, 0
	s_add_u32 s0, s0, 0xc4
	s_addc_u32 s1, s1, 0
	;; [unrolled: 2-line block ×3, first 2 shown]
	.p2align	6
.LBB9_12:                               ; =>This Inner Loop Header: Depth=1
	s_clause 0x1
	s_load_dwordx2 s[40:41], s[22:23], 0x4
	s_load_dword s36, s[22:23], 0xc
	s_load_dwordx2 s[42:43], s[0:1], 0x0
	s_add_u32 s22, s22, 12
	s_addc_u32 s23, s23, 0
	s_add_u32 s0, s0, 8
	s_addc_u32 s1, s1, 0
	s_add_i32 s37, s37, -1
	s_cmp_lg_u32 s37, 0
	s_waitcnt lgkmcnt(0)
	v_mul_hi_u32 v3, s41, v1
	v_add_nc_u32_e32 v3, v1, v3
	v_lshrrev_b32_e32 v4, s36, v3
	v_mul_lo_u32 v3, v4, s40
	v_sub_nc_u32_e32 v1, v1, v3
	v_mad_u64_u32 v[2:3], null, v1, s42, v[2:3]
	v_mad_u64_u32 v[0:1], null, v1, s43, v[0:1]
	v_mov_b32_e32 v1, v4
	s_cbranch_scc1 .LBB9_12
.LBB9_13:
	s_cbranch_execnz .LBB9_16
.LBB9_14:
	s_waitcnt lgkmcnt(0)
	v_mul_hi_u32 v0, s17, v11
	s_andn2_b32 vcc_lo, exec_lo, s31
	v_add_nc_u32_e32 v0, v11, v0
	v_lshrrev_b32_e32 v1, s18, v0
	v_mul_lo_u32 v0, v1, s16
	v_sub_nc_u32_e32 v0, v11, v0
	v_mul_lo_u32 v2, v0, s12
	v_mul_lo_u32 v0, v0, s13
	s_cbranch_vccnz .LBB9_16
; %bb.15:
	v_mul_hi_u32 v3, s6, v1
	v_add_nc_u32_e32 v3, v1, v3
	v_lshrrev_b32_e32 v3, s7, v3
	v_mul_lo_u32 v3, v3, s19
	v_sub_nc_u32_e32 v1, v1, v3
	v_mad_u64_u32 v[2:3], null, v1, s14, v[2:3]
	v_mad_u64_u32 v[0:1], null, v1, s15, v[0:1]
.LBB9_16:
	s_waitcnt lgkmcnt(0)
	v_add_co_u32 v0, s0, s10, v0
	v_add_co_ci_u32_e64 v1, null, s11, 0, s0
	s_and_b32 s0, 0xffff, s30
	s_cmp_lt_i32 s0, 11
	s_cbranch_scc1 .LBB9_23
; %bb.17:
	s_cmp_gt_i32 s0, 25
	s_cbranch_scc0 .LBB9_44
; %bb.18:
	s_cmp_gt_i32 s0, 28
	s_cbranch_scc0 .LBB9_47
	;; [unrolled: 3-line block ×4, first 2 shown]
; %bb.21:
	s_cmp_eq_u32 s0, 46
	s_mov_b32 s23, 0
	s_cbranch_scc0 .LBB9_53
; %bb.22:
	global_load_dword v3, v[0:1], off
	s_mov_b32 s22, -1
	s_mov_b32 s1, 0
	s_waitcnt vmcnt(0)
	v_lshlrev_b32_e32 v3, 16, v3
	v_cvt_f64_f32_e32 v[3:4], v3
	s_branch .LBB9_55
.LBB9_23:
	s_mov_b32 s1, 0
	s_mov_b32 s22, 0
                                        ; implicit-def: $vgpr3_vgpr4
	s_cbranch_execnz .LBB9_228
.LBB9_24:
	s_andn2_b32 vcc_lo, exec_lo, s22
	s_cbranch_vccnz .LBB9_275
.LBB9_25:
	s_waitcnt vmcnt(0)
	v_cmp_ge_f64_e64 s0, 0x40200000, |v[3:4]|
                                        ; implicit-def: $vgpr0_vgpr1
	s_and_saveexec_b32 s22, s0
	s_xor_b32 s0, exec_lo, s22
	s_cbranch_execz .LBB9_31
; %bb.26:
	v_fma_f64 v[0:1], |v[3:4]|, 0.5, -2.0
	s_mov_b32 s22, 0xc38a0576
	s_mov_b32 s23, 0xbc7857d0
	;; [unrolled: 1-line block ×4, first 2 shown]
	v_fma_f64 v[5:6], v[0:1], s[36:37], s[22:23]
	s_mov_b32 s37, 0xbc499f2a
	s_mov_b32 s22, 0xe593bfac
	;; [unrolled: 1-line block ×3, first 2 shown]
	v_fma_f64 v[7:8], v[0:1], v[5:6], s[36:37]
	s_mov_b32 s36, 0x3b39803f
	s_mov_b32 s37, 0xbc7abc9e
	v_add_f64 v[7:8], v[7:8], s[22:23]
	s_mov_b32 s22, 0x7e0d1573
	s_mov_b32 s23, 0xbcd3eaaa
	v_fma_f64 v[5:6], v[0:1], v[7:8], -v[5:6]
	v_add_f64 v[5:6], v[5:6], s[22:23]
	s_mov_b32 s22, 0x615290c
	s_mov_b32 s23, 0x3d011d7f
	v_fma_f64 v[7:8], v[0:1], v[5:6], -v[7:8]
	;; [unrolled: 4-line block ×20, first 2 shown]
	v_add_f64 v[7:8], v[7:8], s[22:23]
	s_mov_b32 s22, 0x652b82fe
	s_mov_b32 s23, 0x3ff71547
	v_mul_f64 v[9:10], |v[3:4]|, s[22:23]
	s_mov_b32 s22, 0x7913a26a
	s_mov_b32 s23, 0xbf85a29f
	v_fma_f64 v[5:6], v[0:1], v[7:8], -v[5:6]
	v_rndne_f64_e32 v[9:10], v[9:10]
	v_add_f64 v[5:6], v[5:6], s[22:23]
	s_mov_b32 s22, 0xfefa39ef
	s_mov_b32 s23, 0xbfe62e42
	v_fma_f64 v[12:13], v[9:10], s[22:23], |v[3:4]|
	s_mov_b32 s22, 0xe7bb2349
	s_mov_b32 s23, 0x3f9951e3
	v_fma_f64 v[7:8], v[0:1], v[5:6], -v[7:8]
	v_fma_f64 v[12:13], v[9:10], s[36:37], v[12:13]
	s_mov_b32 s36, 0x6a5dcb37
	s_mov_b32 s37, 0x3e5ade15
	v_cvt_i32_f64_e32 v9, v[9:10]
	v_add_f64 v[7:8], v[7:8], s[22:23]
	s_mov_b32 s22, 0xfca7ab0c
	s_mov_b32 s23, 0x3e928af3
	v_fma_f64 v[14:15], v[12:13], s[36:37], s[22:23]
	s_mov_b32 s22, 0x537c9ebc
	s_mov_b32 s36, 0x623fde64
	;; [unrolled: 1-line block ×4, first 2 shown]
	v_fma_f64 v[5:6], v[0:1], v[7:8], -v[5:6]
	v_fma_f64 v[14:15], v[12:13], v[14:15], s[36:37]
	s_mov_b32 s36, 0x14761f6e
	s_mov_b32 s37, 0x3f2a01a0
	v_add_f64 v[5:6], v[5:6], s[22:23]
	s_mov_b32 s22, 0x7c89e6b0
	s_mov_b32 s23, 0x3efa0199
	v_fma_f64 v[14:15], v[12:13], v[14:15], s[22:23]
	s_mov_b32 s22, 0xd536f53c
	s_mov_b32 s23, 0x3fba46da
	v_fma_f64 v[7:8], v[0:1], v[5:6], -v[7:8]
	v_fma_f64 v[14:15], v[12:13], v[14:15], s[36:37]
	s_mov_b32 s36, 0x11122322
	s_mov_b32 s37, 0x3f811111
	v_add_f64 v[7:8], v[7:8], s[22:23]
	s_mov_b32 s22, 0x1852b7b0
	s_mov_b32 s23, 0x3f56c16c
	v_fma_f64 v[14:15], v[12:13], v[14:15], s[22:23]
	s_mov_b32 s22, 0x469192e
	s_mov_b32 s23, 0xbfc694d1
	;; [unrolled: 10-line block ×3, first 2 shown]
	v_fma_f64 v[0:1], v[0:1], v[5:6], -v[7:8]
	v_fma_f64 v[5:6], v[12:13], v[14:15], s[36:37]
	v_add_f64 v[0:1], v[0:1], s[22:23]
	s_mov_b32 s22, 11
	s_mov_b32 s23, 0x3fe00000
	v_fma_f64 v[5:6], v[12:13], v[5:6], s[22:23]
	s_mov_b32 s22, exec_lo
	v_add_f64 v[0:1], v[0:1], -v[7:8]
	v_fma_f64 v[5:6], v[12:13], v[5:6], 1.0
	v_mul_f64 v[0:1], v[0:1], 0.5
	v_fma_f64 v[7:8], v[12:13], v[5:6], 1.0
	v_mul_f64 v[5:6], |v[3:4]|, v[0:1]
                                        ; implicit-def: $vgpr0_vgpr1
	v_cmpx_ngt_f64_e32 0, v[3:4]
	s_xor_b32 s22, exec_lo, s22
	s_cbranch_execz .LBB9_28
; %bb.27:
	v_ldexp_f64 v[0:1], v[7:8], v9
	v_cmp_nlt_f64_e64 vcc_lo, 0x40900000, |v[3:4]|
                                        ; implicit-def: $vgpr7_vgpr8
                                        ; implicit-def: $vgpr9
                                        ; implicit-def: $vgpr3_vgpr4
	v_cndmask_b32_e32 v1, 0x7ff00000, v1, vcc_lo
	v_cndmask_b32_e32 v0, 0, v0, vcc_lo
	v_mul_f64 v[0:1], v[0:1], v[5:6]
                                        ; implicit-def: $vgpr5_vgpr6
.LBB9_28:
	s_andn2_saveexec_b32 s22, s22
	s_cbranch_execz .LBB9_30
; %bb.29:
	v_ldexp_f64 v[0:1], -v[7:8], v9
	v_cmp_nlt_f64_e64 vcc_lo, 0x40900000, |v[3:4]|
	v_cndmask_b32_e32 v1, 0xfff00000, v1, vcc_lo
	v_cndmask_b32_e32 v0, 0, v0, vcc_lo
	v_mul_f64 v[0:1], v[0:1], v[5:6]
.LBB9_30:
	s_or_b32 exec_lo, exec_lo, s22
                                        ; implicit-def: $vgpr3_vgpr4
.LBB9_31:
	s_andn2_saveexec_b32 s22, s0
	s_cbranch_execz .LBB9_37
; %bb.32:
	v_and_b32_e32 v1, 0x7fffffff, v4
	v_mov_b32_e32 v0, v3
	s_mov_b32 s36, 0xea87b950
	s_mov_b32 s37, 0x3c545b8a
	;; [unrolled: 1-line block ×4, first 2 shown]
	v_div_scale_f64 v[5:6], null, v[0:1], v[0:1], 0x40400000
	v_div_scale_f64 v[0:1], vcc_lo, 0x40400000, v[0:1], 0x40400000
	v_cmp_ngt_f64_e64 s0, 0, v[3:4]
	v_rcp_f64_e32 v[7:8], v[5:6]
	v_fma_f64 v[9:10], -v[5:6], v[7:8], 1.0
	v_fma_f64 v[7:8], v[7:8], v[9:10], v[7:8]
	v_fma_f64 v[9:10], -v[5:6], v[7:8], 1.0
	v_fma_f64 v[7:8], v[7:8], v[9:10], v[7:8]
	v_mul_f64 v[9:10], v[0:1], v[7:8]
	v_fma_f64 v[0:1], -v[5:6], v[9:10], v[0:1]
	v_div_fmas_f64 v[0:1], v[0:1], v[7:8], v[9:10]
	v_cmp_nlt_f64_e64 vcc_lo, 0x40900000, |v[3:4]|
	v_div_fixup_f64 v[0:1], v[0:1], |v[3:4]|, 0x40400000
	v_add_f64 v[0:1], v[0:1], -2.0
	v_fma_f64 v[5:6], v[0:1], s[40:41], s[36:37]
	s_mov_b32 s41, 0xbc61556d
	s_mov_b32 s36, 0xb2532277
	;; [unrolled: 1-line block ×3, first 2 shown]
	v_fma_f64 v[7:8], v[0:1], v[5:6], s[40:41]
	s_mov_b32 s40, 0x6a5dcb37
	s_mov_b32 s41, 0x3e5ade15
	v_add_f64 v[7:8], v[7:8], s[36:37]
	s_mov_b32 s36, 0x9c773320
	s_mov_b32 s37, 0xbc82806c
	v_fma_f64 v[5:6], v[0:1], v[7:8], -v[5:6]
	v_add_f64 v[5:6], v[5:6], s[36:37]
	s_mov_b32 s36, 0xfceb588a
	s_mov_b32 s37, 0x3cb55915
	v_fma_f64 v[7:8], v[0:1], v[5:6], -v[7:8]
	;; [unrolled: 4-line block ×14, first 2 shown]
	v_add_f64 v[7:8], v[7:8], s[36:37]
	s_mov_b32 s36, 0x652b82fe
	s_mov_b32 s37, 0x3ff71547
	v_mul_f64 v[9:10], |v[3:4]|, s[36:37]
	s_mov_b32 s36, 0x5423dd80
	s_mov_b32 s37, 0xbe0334ca
	v_fma_f64 v[5:6], v[0:1], v[7:8], -v[5:6]
	v_rndne_f64_e32 v[9:10], v[9:10]
	v_add_f64 v[5:6], v[5:6], s[36:37]
	s_mov_b32 s36, 0xfefa39ef
	s_mov_b32 s37, 0xbfe62e42
	v_fma_f64 v[12:13], v[9:10], s[36:37], |v[3:4]|
	s_mov_b32 s36, 0x9ad53528
	s_mov_b32 s37, 0xbe30790b
	v_fma_f64 v[7:8], v[0:1], v[5:6], -v[7:8]
	v_add_f64 v[7:8], v[7:8], s[36:37]
	s_mov_b32 s36, 0x3b39803f
	s_mov_b32 s37, 0xbc7abc9e
	v_fma_f64 v[12:13], v[9:10], s[36:37], v[12:13]
	s_mov_b32 s36, 0xfca7ab0c
	s_mov_b32 s37, 0x3e928af3
	v_cvt_i32_f64_e32 v9, v[9:10]
	v_fma_f64 v[5:6], v[0:1], v[7:8], -v[5:6]
	v_fma_f64 v[14:15], v[12:13], s[40:41], s[36:37]
	s_mov_b32 s36, 0x94bb46c1
	s_mov_b32 s37, 0xbe5c4153
	v_add_f64 v[5:6], v[5:6], s[36:37]
	s_mov_b32 s36, 0x623fde64
	s_mov_b32 s37, 0x3ec71dee
	v_fma_f64 v[14:15], v[12:13], v[14:15], s[36:37]
	s_mov_b32 s36, 0x7c89e6b0
	s_mov_b32 s37, 0x3efa0199
	v_fma_f64 v[7:8], v[0:1], v[5:6], -v[7:8]
	v_fma_f64 v[14:15], v[12:13], v[14:15], s[36:37]
	s_mov_b32 s36, 0x2e9e5443
	s_mov_b32 s37, 0xbe90dbfd
	v_add_f64 v[7:8], v[7:8], s[36:37]
	s_mov_b32 s36, 0x14761f6e
	s_mov_b32 s37, 0x3f2a01a0
	v_fma_f64 v[14:15], v[12:13], v[14:15], s[36:37]
	s_mov_b32 s36, 0x1852b7b0
	s_mov_b32 s37, 0x3f56c16c
	;; [unrolled: 10-line block ×4, first 2 shown]
	v_fma_f64 v[5:6], v[0:1], v[7:8], -v[5:6]
	v_fma_f64 v[14:15], v[12:13], v[14:15], s[36:37]
	s_mov_b32 s36, 0x53fcdb4c
	s_mov_b32 s37, 0xbf83fda0
	v_add_f64 v[5:6], v[5:6], s[36:37]
	s_mov_b32 s36, 0xb55b1514
	s_mov_b32 s37, 0x3fe8ea18
	v_fma_f64 v[14:15], v[12:13], v[14:15], 1.0
	v_fma_f64 v[0:1], v[0:1], v[5:6], -v[7:8]
	v_fma_f64 v[5:6], v[12:13], v[14:15], 1.0
	v_add_f64 v[0:1], v[0:1], s[36:37]
	v_ldexp_f64 v[5:6], v[5:6], v9
	v_add_f64 v[7:8], v[0:1], -v[7:8]
                                        ; implicit-def: $vgpr0_vgpr1
	v_cndmask_b32_e32 v6, 0x7ff00000, v6, vcc_lo
	v_cndmask_b32_e32 v5, 0, v5, vcc_lo
	s_and_saveexec_b32 s23, s0
	s_xor_b32 s0, exec_lo, s23
	s_cbranch_execz .LBB9_34
; %bb.33:
	v_cmp_gt_f64_e64 s23, 0x10000000, |v[3:4]|
	v_mul_f64 v[7:8], v[7:8], 0.5
	v_cndmask_b32_e64 v0, 0, 0x100, s23
	v_mul_f64 v[5:6], v[5:6], v[7:8]
	v_ldexp_f64 v[0:1], |v[3:4]|, v0
	v_rsq_f64_e32 v[3:4], v[0:1]
	v_cmp_class_f64_e64 vcc_lo, v[0:1], 0x260
	v_mul_f64 v[9:10], v[0:1], v[3:4]
	v_mul_f64 v[3:4], v[3:4], 0.5
	v_fma_f64 v[12:13], -v[3:4], v[9:10], 0.5
	v_fma_f64 v[9:10], v[9:10], v[12:13], v[9:10]
	v_fma_f64 v[3:4], v[3:4], v[12:13], v[3:4]
	v_fma_f64 v[12:13], -v[9:10], v[9:10], v[0:1]
	v_fma_f64 v[9:10], v[12:13], v[3:4], v[9:10]
	v_fma_f64 v[12:13], -v[9:10], v[9:10], v[0:1]
	v_fma_f64 v[3:4], v[12:13], v[3:4], v[9:10]
	v_cndmask_b32_e64 v9, 0, 0xffffff80, s23
	v_ldexp_f64 v[3:4], v[3:4], v9
	v_cndmask_b32_e32 v1, v4, v1, vcc_lo
	v_cndmask_b32_e32 v0, v3, v0, vcc_lo
	v_div_scale_f64 v[3:4], null, v[0:1], v[0:1], v[5:6]
	v_rcp_f64_e32 v[7:8], v[3:4]
	v_fma_f64 v[9:10], -v[3:4], v[7:8], 1.0
	v_fma_f64 v[7:8], v[7:8], v[9:10], v[7:8]
	v_fma_f64 v[9:10], -v[3:4], v[7:8], 1.0
	v_fma_f64 v[7:8], v[7:8], v[9:10], v[7:8]
	v_div_scale_f64 v[9:10], vcc_lo, v[5:6], v[0:1], v[5:6]
	v_mul_f64 v[12:13], v[9:10], v[7:8]
	v_fma_f64 v[3:4], -v[3:4], v[12:13], v[9:10]
	v_div_fmas_f64 v[3:4], v[3:4], v[7:8], v[12:13]
                                        ; implicit-def: $vgpr7_vgpr8
	v_div_fixup_f64 v[0:1], v[3:4], v[0:1], v[5:6]
                                        ; implicit-def: $vgpr3_vgpr4
                                        ; implicit-def: $vgpr5_vgpr6
.LBB9_34:
	s_andn2_saveexec_b32 s0, s0
	s_cbranch_execz .LBB9_36
; %bb.35:
	v_cmp_gt_f64_e64 s23, 0x10000000, |v[3:4]|
	v_mul_f64 v[7:8], v[7:8], -0.5
	v_cndmask_b32_e64 v0, 0, 0x100, s23
	v_mul_f64 v[5:6], v[5:6], v[7:8]
	v_ldexp_f64 v[0:1], |v[3:4]|, v0
	v_rsq_f64_e32 v[3:4], v[0:1]
	v_cmp_class_f64_e64 vcc_lo, v[0:1], 0x260
	v_mul_f64 v[9:10], v[0:1], v[3:4]
	v_mul_f64 v[3:4], v[3:4], 0.5
	v_fma_f64 v[12:13], -v[3:4], v[9:10], 0.5
	v_fma_f64 v[9:10], v[9:10], v[12:13], v[9:10]
	v_fma_f64 v[3:4], v[3:4], v[12:13], v[3:4]
	v_fma_f64 v[12:13], -v[9:10], v[9:10], v[0:1]
	v_fma_f64 v[9:10], v[12:13], v[3:4], v[9:10]
	v_fma_f64 v[12:13], -v[9:10], v[9:10], v[0:1]
	v_fma_f64 v[3:4], v[12:13], v[3:4], v[9:10]
	v_cndmask_b32_e64 v9, 0, 0xffffff80, s23
	v_ldexp_f64 v[3:4], v[3:4], v9
	v_cndmask_b32_e32 v1, v4, v1, vcc_lo
	v_cndmask_b32_e32 v0, v3, v0, vcc_lo
	v_div_scale_f64 v[3:4], null, v[0:1], v[0:1], v[5:6]
	v_rcp_f64_e32 v[7:8], v[3:4]
	v_fma_f64 v[9:10], -v[3:4], v[7:8], 1.0
	v_fma_f64 v[7:8], v[7:8], v[9:10], v[7:8]
	v_fma_f64 v[9:10], -v[3:4], v[7:8], 1.0
	v_fma_f64 v[7:8], v[7:8], v[9:10], v[7:8]
	v_div_scale_f64 v[9:10], vcc_lo, v[5:6], v[0:1], v[5:6]
	v_mul_f64 v[12:13], v[9:10], v[7:8]
	v_fma_f64 v[3:4], -v[3:4], v[12:13], v[9:10]
	v_div_fmas_f64 v[3:4], v[3:4], v[7:8], v[12:13]
	v_div_fixup_f64 v[0:1], v[3:4], v[0:1], v[5:6]
.LBB9_36:
	s_or_b32 exec_lo, exec_lo, s0
.LBB9_37:
	s_or_b32 exec_lo, exec_lo, s22
	v_add_co_u32 v4, s0, s8, v2
	v_add_co_ci_u32_e64 v5, null, s9, 0, s0
	s_and_b32 s22, s29, 0xff
	s_cmp_lt_i32 s22, 11
	s_cbranch_scc1 .LBB9_45
; %bb.38:
	s_and_b32 s23, 0xffff, s22
	s_cmp_gt_i32 s23, 25
	s_cbranch_scc0 .LBB9_48
; %bb.39:
	s_cmp_gt_i32 s23, 28
	s_cbranch_scc0 .LBB9_50
; %bb.40:
	;; [unrolled: 3-line block ×4, first 2 shown]
	s_mov_b32 s37, 0
	s_mov_b32 s0, -1
	s_cmp_eq_u32 s23, 46
	s_mov_b32 s36, 0
	s_cbranch_scc0 .LBB9_59
; %bb.43:
	v_cvt_f32_f64_e32 v2, v[0:1]
	s_mov_b32 s36, -1
	s_mov_b32 s0, 0
	v_bfe_u32 v3, v2, 16, 1
	v_cmp_o_f32_e32 vcc_lo, v2, v2
	v_add3_u32 v2, v2, v3, 0x7fff
	v_mov_b32_e32 v3, 0x7fc0
	v_cndmask_b32_sdwa v2, v3, v2, vcc_lo dst_sel:DWORD dst_unused:UNUSED_PAD src0_sel:DWORD src1_sel:WORD_1
	global_store_dword v[4:5], v2, off
	s_branch .LBB9_59
.LBB9_44:
	s_mov_b32 s1, 0
	s_mov_b32 s22, 0
                                        ; implicit-def: $vgpr3_vgpr4
	s_cbranch_execnz .LBB9_195
	s_branch .LBB9_227
.LBB9_45:
	s_mov_b32 s0, 0
	s_mov_b32 s36, 0
	s_cbranch_execnz .LBB9_128
.LBB9_46:
	s_andn2_b32 vcc_lo, exec_lo, s36
	s_cbranch_vccz .LBB9_166
	s_branch .LBB9_276
.LBB9_47:
	s_mov_b32 s23, -1
	s_mov_b32 s1, 0
	s_mov_b32 s22, 0
                                        ; implicit-def: $vgpr3_vgpr4
	s_branch .LBB9_174
.LBB9_48:
	s_mov_b32 s37, -1
	s_mov_b32 s0, 0
	s_mov_b32 s36, 0
	s_branch .LBB9_86
.LBB9_49:
	s_mov_b32 s23, -1
	s_mov_b32 s1, 0
	s_mov_b32 s22, 0
                                        ; implicit-def: $vgpr3_vgpr4
	s_branch .LBB9_169
.LBB9_50:
	s_mov_b32 s37, -1
	s_mov_b32 s0, 0
	s_mov_b32 s36, 0
	s_branch .LBB9_69
.LBB9_51:
	s_mov_b32 s23, -1
	s_mov_b32 s1, 0
	s_branch .LBB9_54
.LBB9_52:
	s_mov_b32 s37, -1
	s_mov_b32 s0, 0
	s_mov_b32 s36, 0
	s_branch .LBB9_65
.LBB9_53:
	s_mov_b32 s1, -1
.LBB9_54:
	s_mov_b32 s22, 0
                                        ; implicit-def: $vgpr3_vgpr4
.LBB9_55:
	s_and_b32 vcc_lo, exec_lo, s23
	s_cbranch_vccz .LBB9_168
; %bb.56:
	s_cmp_eq_u32 s0, 44
	s_cbranch_scc0 .LBB9_167
; %bb.57:
	global_load_ubyte v5, v[0:1], off
	s_mov_b32 s1, 0
	s_mov_b32 s22, -1
	s_waitcnt vmcnt(0)
	v_lshlrev_b32_e32 v3, 23, v5
	v_cmp_ne_u32_e32 vcc_lo, 0xff, v5
	v_cvt_f64_f32_e32 v[3:4], v3
	v_cndmask_b32_e32 v3, 0x20000000, v3, vcc_lo
	v_cndmask_b32_e32 v4, 0x7ff80000, v4, vcc_lo
	v_cmp_ne_u32_e32 vcc_lo, 0, v5
	v_cndmask_b32_e32 v4, 0x38000000, v4, vcc_lo
	v_cndmask_b32_e32 v3, 0, v3, vcc_lo
	s_branch .LBB9_168
.LBB9_58:
	s_mov_b32 s37, -1
	s_mov_b32 s0, 0
	s_mov_b32 s36, 0
.LBB9_59:
	s_and_b32 vcc_lo, exec_lo, s37
	s_cbranch_vccz .LBB9_64
; %bb.60:
	s_cmp_eq_u32 s23, 44
	s_mov_b32 s0, -1
	s_cbranch_scc0 .LBB9_64
; %bb.61:
	v_cvt_f32_f64_e32 v2, v[0:1]
	v_mov_b32_e32 v3, 0xff
	s_mov_b32 s36, exec_lo
	v_bfe_u32 v6, v2, 23, 8
	v_cmpx_ne_u32_e32 0xff, v6
	s_cbranch_execz .LBB9_63
; %bb.62:
	v_and_b32_e32 v3, 0x400000, v2
	v_and_or_b32 v6, 0x3fffff, v2, v6
	v_lshrrev_b32_e32 v2, 23, v2
	v_cmp_ne_u32_e32 vcc_lo, 0, v3
	v_cmp_ne_u32_e64 s0, 0, v6
	s_and_b32 s0, vcc_lo, s0
	v_cndmask_b32_e64 v3, 0, 1, s0
	v_add_nc_u32_e32 v3, v2, v3
.LBB9_63:
	s_or_b32 exec_lo, exec_lo, s36
	s_mov_b32 s36, -1
	s_mov_b32 s0, 0
	global_store_byte v[4:5], v3, off
.LBB9_64:
	s_mov_b32 s37, 0
.LBB9_65:
	s_and_b32 vcc_lo, exec_lo, s37
	s_cbranch_vccz .LBB9_68
; %bb.66:
	s_cmp_eq_u32 s23, 29
	s_mov_b32 s0, -1
	s_cbranch_scc0 .LBB9_68
; %bb.67:
	v_trunc_f64_e32 v[2:3], v[0:1]
	s_mov_b32 s36, -1
	s_mov_b32 s0, 0
	s_mov_b32 s37, 0
	v_ldexp_f64 v[6:7], v[2:3], 0xffffffe0
	v_floor_f64_e32 v[6:7], v[6:7]
	v_fma_f64 v[2:3], 0xc1f00000, v[6:7], v[2:3]
	v_cvt_u32_f64_e32 v7, v[6:7]
	v_cvt_u32_f64_e32 v6, v[2:3]
	global_store_dwordx2 v[4:5], v[6:7], off
	s_branch .LBB9_69
.LBB9_68:
	s_mov_b32 s37, 0
.LBB9_69:
	s_and_b32 vcc_lo, exec_lo, s37
	s_cbranch_vccz .LBB9_85
; %bb.70:
	s_cmp_lt_i32 s23, 27
	s_mov_b32 s36, -1
	s_cbranch_scc1 .LBB9_76
; %bb.71:
	v_cvt_u32_f64_e32 v2, v[0:1]
	s_cmp_gt_i32 s23, 27
	s_cbranch_scc0 .LBB9_73
; %bb.72:
	s_mov_b32 s36, 0
	global_store_dword v[4:5], v2, off
.LBB9_73:
	s_andn2_b32 vcc_lo, exec_lo, s36
	s_cbranch_vccnz .LBB9_75
; %bb.74:
	global_store_short v[4:5], v2, off
.LBB9_75:
	s_mov_b32 s36, 0
.LBB9_76:
	s_andn2_b32 vcc_lo, exec_lo, s36
	s_cbranch_vccnz .LBB9_84
; %bb.77:
	v_cvt_f32_f64_e32 v2, v[0:1]
	v_mov_b32_e32 v6, 0x80
	s_mov_b32 s36, exec_lo
	v_and_b32_e32 v3, 0x7fffffff, v2
	v_cmpx_gt_u32_e32 0x43800000, v3
	s_cbranch_execz .LBB9_83
; %bb.78:
	v_cmp_lt_u32_e32 vcc_lo, 0x3bffffff, v3
	s_mov_b32 s37, 0
                                        ; implicit-def: $vgpr3
	s_and_saveexec_b32 s40, vcc_lo
	s_xor_b32 s40, exec_lo, s40
	s_cbranch_execz .LBB9_331
; %bb.79:
	v_bfe_u32 v3, v2, 20, 1
	s_mov_b32 s37, exec_lo
	v_add3_u32 v3, v2, v3, 0x487ffff
	v_lshrrev_b32_e32 v3, 20, v3
	s_andn2_saveexec_b32 s40, s40
	s_cbranch_execnz .LBB9_332
.LBB9_80:
	s_or_b32 exec_lo, exec_lo, s40
	v_mov_b32_e32 v6, 0
	s_and_saveexec_b32 s40, s37
.LBB9_81:
	v_lshrrev_b32_e32 v2, 24, v2
	v_and_or_b32 v6, 0x80, v2, v3
.LBB9_82:
	s_or_b32 exec_lo, exec_lo, s40
.LBB9_83:
	s_or_b32 exec_lo, exec_lo, s36
	global_store_byte v[4:5], v6, off
.LBB9_84:
	s_mov_b32 s36, -1
.LBB9_85:
	s_mov_b32 s37, 0
.LBB9_86:
	s_and_b32 vcc_lo, exec_lo, s37
	s_cbranch_vccz .LBB9_127
; %bb.87:
	s_cmp_gt_i32 s23, 22
	s_mov_b32 s37, -1
	s_cbranch_scc0 .LBB9_119
; %bb.88:
	s_cmp_lt_i32 s23, 24
	s_mov_b32 s36, -1
	s_cbranch_scc1 .LBB9_108
; %bb.89:
	s_cmp_gt_i32 s23, 24
	s_cbranch_scc0 .LBB9_97
; %bb.90:
	v_cvt_f32_f64_e32 v2, v[0:1]
	v_mov_b32_e32 v6, 0x80
	s_mov_b32 s36, exec_lo
	v_and_b32_e32 v3, 0x7fffffff, v2
	v_cmpx_gt_u32_e32 0x47800000, v3
	s_cbranch_execz .LBB9_96
; %bb.91:
	v_cmp_lt_u32_e32 vcc_lo, 0x37ffffff, v3
	s_mov_b32 s37, 0
                                        ; implicit-def: $vgpr3
	s_and_saveexec_b32 s40, vcc_lo
	s_xor_b32 s40, exec_lo, s40
	s_cbranch_execz .LBB9_335
; %bb.92:
	v_bfe_u32 v3, v2, 21, 1
	s_mov_b32 s37, exec_lo
	v_add3_u32 v3, v2, v3, 0x88fffff
	v_lshrrev_b32_e32 v3, 21, v3
	s_andn2_saveexec_b32 s40, s40
	s_cbranch_execnz .LBB9_336
.LBB9_93:
	s_or_b32 exec_lo, exec_lo, s40
	v_mov_b32_e32 v6, 0
	s_and_saveexec_b32 s40, s37
.LBB9_94:
	v_lshrrev_b32_e32 v2, 24, v2
	v_and_or_b32 v6, 0x80, v2, v3
.LBB9_95:
	s_or_b32 exec_lo, exec_lo, s40
.LBB9_96:
	s_or_b32 exec_lo, exec_lo, s36
	s_mov_b32 s36, 0
	global_store_byte v[4:5], v6, off
.LBB9_97:
	s_and_b32 vcc_lo, exec_lo, s36
	s_cbranch_vccz .LBB9_107
; %bb.98:
	v_cvt_f32_f64_e32 v2, v[0:1]
	s_mov_b32 s36, exec_lo
                                        ; implicit-def: $vgpr3
	v_and_b32_e32 v6, 0x7fffffff, v2
	v_cmpx_gt_u32_e32 0x43f00000, v6
	s_xor_b32 s36, exec_lo, s36
	s_cbranch_execz .LBB9_104
; %bb.99:
	s_mov_b32 s37, exec_lo
                                        ; implicit-def: $vgpr3
	v_cmpx_lt_u32_e32 0x3c7fffff, v6
	s_xor_b32 s37, exec_lo, s37
; %bb.100:
	v_bfe_u32 v3, v2, 20, 1
	v_add3_u32 v3, v2, v3, 0x407ffff
	v_and_b32_e32 v6, 0xff00000, v3
	v_lshrrev_b32_e32 v3, 20, v3
	v_cmp_ne_u32_e32 vcc_lo, 0x7f00000, v6
	v_cndmask_b32_e32 v3, 0x7e, v3, vcc_lo
; %bb.101:
	s_andn2_saveexec_b32 s37, s37
; %bb.102:
	v_add_f32_e64 v3, 0x46800000, |v2|
; %bb.103:
	s_or_b32 exec_lo, exec_lo, s37
                                        ; implicit-def: $vgpr6
.LBB9_104:
	s_andn2_saveexec_b32 s36, s36
; %bb.105:
	v_mov_b32_e32 v3, 0x7f
	v_cmp_lt_u32_e32 vcc_lo, 0x7f800000, v6
	v_cndmask_b32_e32 v3, 0x7e, v3, vcc_lo
; %bb.106:
	s_or_b32 exec_lo, exec_lo, s36
	v_lshrrev_b32_e32 v2, 24, v2
	v_and_or_b32 v2, 0x80, v2, v3
	global_store_byte v[4:5], v2, off
.LBB9_107:
	s_mov_b32 s36, 0
.LBB9_108:
	s_andn2_b32 vcc_lo, exec_lo, s36
	s_cbranch_vccnz .LBB9_118
; %bb.109:
	v_cvt_f32_f64_e32 v2, v[0:1]
	s_mov_b32 s36, exec_lo
                                        ; implicit-def: $vgpr3
	v_and_b32_e32 v6, 0x7fffffff, v2
	v_cmpx_gt_u32_e32 0x47800000, v6
	s_xor_b32 s36, exec_lo, s36
	s_cbranch_execz .LBB9_115
; %bb.110:
	s_mov_b32 s37, exec_lo
                                        ; implicit-def: $vgpr3
	v_cmpx_lt_u32_e32 0x387fffff, v6
	s_xor_b32 s37, exec_lo, s37
; %bb.111:
	v_bfe_u32 v3, v2, 21, 1
	v_add3_u32 v3, v2, v3, 0x80fffff
	v_lshrrev_b32_e32 v3, 21, v3
; %bb.112:
	s_andn2_saveexec_b32 s37, s37
; %bb.113:
	v_add_f32_e64 v3, 0x43000000, |v2|
; %bb.114:
	s_or_b32 exec_lo, exec_lo, s37
                                        ; implicit-def: $vgpr6
.LBB9_115:
	s_andn2_saveexec_b32 s36, s36
; %bb.116:
	v_mov_b32_e32 v3, 0x7f
	v_cmp_lt_u32_e32 vcc_lo, 0x7f800000, v6
	v_cndmask_b32_e32 v3, 0x7c, v3, vcc_lo
; %bb.117:
	s_or_b32 exec_lo, exec_lo, s36
	v_lshrrev_b32_e32 v2, 24, v2
	v_and_or_b32 v2, 0x80, v2, v3
	global_store_byte v[4:5], v2, off
.LBB9_118:
	s_mov_b32 s37, 0
	s_mov_b32 s36, -1
.LBB9_119:
	s_andn2_b32 vcc_lo, exec_lo, s37
	s_cbranch_vccnz .LBB9_127
; %bb.120:
	s_cmp_gt_i32 s23, 14
	s_mov_b32 s37, -1
	s_cbranch_scc0 .LBB9_124
; %bb.121:
	s_cmp_eq_u32 s23, 15
	s_mov_b32 s0, -1
	s_cbranch_scc0 .LBB9_123
; %bb.122:
	v_cvt_f32_f64_e32 v2, v[0:1]
	s_mov_b32 s36, -1
	s_mov_b32 s0, 0
	v_bfe_u32 v3, v2, 16, 1
	v_cmp_o_f32_e32 vcc_lo, v2, v2
	v_add3_u32 v2, v2, v3, 0x7fff
	v_mov_b32_e32 v3, 0x7fc0
	v_cndmask_b32_sdwa v2, v3, v2, vcc_lo dst_sel:DWORD dst_unused:UNUSED_PAD src0_sel:DWORD src1_sel:WORD_1
	global_store_short v[4:5], v2, off
.LBB9_123:
	s_mov_b32 s37, 0
.LBB9_124:
	s_and_b32 vcc_lo, exec_lo, s37
	s_cbranch_vccz .LBB9_127
; %bb.125:
	s_cmp_eq_u32 s23, 11
	s_mov_b32 s0, -1
	s_cbranch_scc0 .LBB9_127
; %bb.126:
	v_cmp_neq_f64_e32 vcc_lo, 0, v[0:1]
	s_mov_b32 s36, -1
	s_mov_b32 s0, 0
	v_cndmask_b32_e64 v2, 0, 1, vcc_lo
	global_store_byte v[4:5], v2, off
.LBB9_127:
	s_branch .LBB9_46
.LBB9_128:
	s_and_b32 s22, 0xffff, s22
	s_mov_b32 s23, -1
	s_cmp_lt_i32 s22, 5
	s_cbranch_scc1 .LBB9_149
; %bb.129:
	s_cmp_lt_i32 s22, 8
	s_cbranch_scc1 .LBB9_139
; %bb.130:
	s_cmp_lt_i32 s22, 9
	s_cbranch_scc1 .LBB9_136
; %bb.131:
	s_cmp_gt_i32 s22, 9
	s_cbranch_scc0 .LBB9_133
; %bb.132:
	v_mov_b32_e32 v2, 0
	s_mov_b32 s23, 0
	v_mov_b32_e32 v3, v2
	global_store_dwordx4 v[4:5], v[0:3], off
.LBB9_133:
	s_andn2_b32 vcc_lo, exec_lo, s23
	s_cbranch_vccnz .LBB9_135
; %bb.134:
	v_cvt_f32_f64_e32 v2, v[0:1]
	v_mov_b32_e32 v3, 0
	global_store_dwordx2 v[4:5], v[2:3], off
.LBB9_135:
	s_mov_b32 s23, 0
.LBB9_136:
	s_andn2_b32 vcc_lo, exec_lo, s23
	s_cbranch_vccnz .LBB9_138
; %bb.137:
	v_and_or_b32 v2, 0x1ff, v1, v0
	v_lshrrev_b32_e32 v3, 8, v1
	v_bfe_u32 v6, v1, 20, 11
	v_cmp_ne_u32_e32 vcc_lo, 0, v2
	v_sub_nc_u32_e32 v7, 0x3f1, v6
	v_add_nc_u32_e32 v6, 0xfffffc10, v6
	v_cndmask_b32_e64 v2, 0, 1, vcc_lo
	v_and_or_b32 v2, 0xffe, v3, v2
	v_med3_i32 v3, v7, 0, 13
	v_or_b32_e32 v7, 0x1000, v2
	v_lshrrev_b32_e32 v8, v3, v7
	v_lshlrev_b32_e32 v3, v3, v8
	v_cmp_ne_u32_e32 vcc_lo, v3, v7
	v_lshl_or_b32 v7, v6, 12, v2
	v_cndmask_b32_e64 v3, 0, 1, vcc_lo
	v_cmp_gt_i32_e32 vcc_lo, 1, v6
	v_or_b32_e32 v3, v8, v3
	v_cndmask_b32_e32 v3, v7, v3, vcc_lo
	v_and_b32_e32 v7, 7, v3
	v_lshrrev_b32_e32 v3, 2, v3
	v_cmp_lt_i32_e32 vcc_lo, 5, v7
	v_cndmask_b32_e64 v8, 0, 1, vcc_lo
	v_cmp_eq_u32_e32 vcc_lo, 3, v7
	v_cndmask_b32_e64 v7, 0, 1, vcc_lo
	v_cmp_ne_u32_e32 vcc_lo, 0, v2
	v_or_b32_e32 v7, v7, v8
	v_mov_b32_e32 v8, 0x7e00
	v_add_nc_u32_e32 v3, v3, v7
	v_cndmask_b32_e32 v2, 0x7c00, v8, vcc_lo
	v_cmp_gt_i32_e32 vcc_lo, 31, v6
	v_cndmask_b32_e32 v3, 0x7c00, v3, vcc_lo
	v_cmp_eq_u32_e32 vcc_lo, 0x40f, v6
	v_cndmask_b32_e32 v2, v3, v2, vcc_lo
	v_lshrrev_b32_e32 v3, 16, v1
	v_and_or_b32 v2, 0x8000, v3, v2
	v_and_b32_e32 v2, 0xffff, v2
	global_store_dword v[4:5], v2, off
.LBB9_138:
	s_mov_b32 s23, 0
.LBB9_139:
	s_andn2_b32 vcc_lo, exec_lo, s23
	s_cbranch_vccnz .LBB9_148
; %bb.140:
	s_cmp_lt_i32 s22, 6
	s_mov_b32 s23, -1
	s_cbranch_scc1 .LBB9_146
; %bb.141:
	s_cmp_gt_i32 s22, 6
	s_cbranch_scc0 .LBB9_143
; %bb.142:
	s_mov_b32 s23, 0
	global_store_dwordx2 v[4:5], v[0:1], off
.LBB9_143:
	s_andn2_b32 vcc_lo, exec_lo, s23
	s_cbranch_vccnz .LBB9_145
; %bb.144:
	v_cvt_f32_f64_e32 v2, v[0:1]
	global_store_dword v[4:5], v2, off
.LBB9_145:
	s_mov_b32 s23, 0
.LBB9_146:
	s_andn2_b32 vcc_lo, exec_lo, s23
	s_cbranch_vccnz .LBB9_148
; %bb.147:
	v_and_or_b32 v2, 0x1ff, v1, v0
	v_lshrrev_b32_e32 v3, 8, v1
	v_bfe_u32 v6, v1, 20, 11
	v_cmp_ne_u32_e32 vcc_lo, 0, v2
	v_sub_nc_u32_e32 v7, 0x3f1, v6
	v_add_nc_u32_e32 v6, 0xfffffc10, v6
	v_cndmask_b32_e64 v2, 0, 1, vcc_lo
	v_and_or_b32 v2, 0xffe, v3, v2
	v_med3_i32 v3, v7, 0, 13
	v_or_b32_e32 v7, 0x1000, v2
	v_lshrrev_b32_e32 v8, v3, v7
	v_lshlrev_b32_e32 v3, v3, v8
	v_cmp_ne_u32_e32 vcc_lo, v3, v7
	v_lshl_or_b32 v7, v6, 12, v2
	v_cndmask_b32_e64 v3, 0, 1, vcc_lo
	v_cmp_gt_i32_e32 vcc_lo, 1, v6
	v_or_b32_e32 v3, v8, v3
	v_cndmask_b32_e32 v3, v7, v3, vcc_lo
	v_and_b32_e32 v7, 7, v3
	v_lshrrev_b32_e32 v3, 2, v3
	v_cmp_lt_i32_e32 vcc_lo, 5, v7
	v_cndmask_b32_e64 v8, 0, 1, vcc_lo
	v_cmp_eq_u32_e32 vcc_lo, 3, v7
	v_cndmask_b32_e64 v7, 0, 1, vcc_lo
	v_cmp_ne_u32_e32 vcc_lo, 0, v2
	v_or_b32_e32 v7, v7, v8
	v_mov_b32_e32 v8, 0x7e00
	v_add_nc_u32_e32 v3, v3, v7
	v_cndmask_b32_e32 v2, 0x7c00, v8, vcc_lo
	v_cmp_gt_i32_e32 vcc_lo, 31, v6
	v_cndmask_b32_e32 v3, 0x7c00, v3, vcc_lo
	v_cmp_eq_u32_e32 vcc_lo, 0x40f, v6
	v_cndmask_b32_e32 v2, v3, v2, vcc_lo
	v_lshrrev_b32_e32 v3, 16, v1
	v_and_or_b32 v2, 0x8000, v3, v2
	global_store_short v[4:5], v2, off
.LBB9_148:
	s_mov_b32 s23, 0
.LBB9_149:
	s_andn2_b32 vcc_lo, exec_lo, s23
	s_cbranch_vccnz .LBB9_165
; %bb.150:
	s_cmp_lt_i32 s22, 2
	s_mov_b32 s23, -1
	s_cbranch_scc1 .LBB9_160
; %bb.151:
	s_cmp_lt_i32 s22, 3
	s_cbranch_scc1 .LBB9_157
; %bb.152:
	s_cmp_gt_i32 s22, 3
	s_cbranch_scc0 .LBB9_154
; %bb.153:
	v_trunc_f64_e32 v[2:3], v[0:1]
	s_mov_b32 s23, 0
	v_ldexp_f64 v[6:7], v[2:3], 0xffffffe0
	v_floor_f64_e32 v[6:7], v[6:7]
	v_fma_f64 v[2:3], 0xc1f00000, v[6:7], v[2:3]
	v_cvt_i32_f64_e32 v7, v[6:7]
	v_cvt_u32_f64_e32 v6, v[2:3]
	global_store_dwordx2 v[4:5], v[6:7], off
.LBB9_154:
	s_andn2_b32 vcc_lo, exec_lo, s23
	s_cbranch_vccnz .LBB9_156
; %bb.155:
	v_cvt_i32_f64_e32 v2, v[0:1]
	global_store_dword v[4:5], v2, off
.LBB9_156:
	s_mov_b32 s23, 0
.LBB9_157:
	s_andn2_b32 vcc_lo, exec_lo, s23
	s_cbranch_vccnz .LBB9_159
; %bb.158:
	v_cvt_i32_f64_e32 v2, v[0:1]
	global_store_short v[4:5], v2, off
.LBB9_159:
	s_mov_b32 s23, 0
.LBB9_160:
	s_andn2_b32 vcc_lo, exec_lo, s23
	s_cbranch_vccnz .LBB9_165
; %bb.161:
	s_cmp_gt_i32 s22, 0
	s_mov_b32 s22, -1
	s_cbranch_scc0 .LBB9_163
; %bb.162:
	v_cvt_i32_f64_e32 v2, v[0:1]
	s_mov_b32 s22, 0
	global_store_byte v[4:5], v2, off
.LBB9_163:
	s_andn2_b32 vcc_lo, exec_lo, s22
	s_cbranch_vccnz .LBB9_165
; %bb.164:
	v_trunc_f64_e32 v[0:1], v[0:1]
	v_ldexp_f64 v[2:3], v[0:1], 0xffffffe0
	v_floor_f64_e32 v[2:3], v[2:3]
	v_fma_f64 v[0:1], 0xc1f00000, v[2:3], v[0:1]
	v_cvt_u32_f64_e32 v0, v[0:1]
	global_store_byte v[4:5], v0, off
.LBB9_165:
.LBB9_166:
	v_add_nc_u32_e32 v11, 0x80, v11
	s_mov_b32 s22, -1
	s_branch .LBB9_277
.LBB9_167:
	s_mov_b32 s1, -1
                                        ; implicit-def: $vgpr3_vgpr4
.LBB9_168:
	s_mov_b32 s23, 0
.LBB9_169:
	s_and_b32 vcc_lo, exec_lo, s23
	s_cbranch_vccz .LBB9_173
; %bb.170:
	s_cmp_eq_u32 s0, 29
	s_cbranch_scc0 .LBB9_172
; %bb.171:
	global_load_dwordx2 v[3:4], v[0:1], off
	s_mov_b32 s22, -1
	s_mov_b32 s1, 0
	s_mov_b32 s23, 0
	s_waitcnt vmcnt(0)
	v_cvt_f64_u32_e32 v[4:5], v4
	v_cvt_f64_u32_e32 v[6:7], v3
	v_ldexp_f64 v[4:5], v[4:5], 32
	v_add_f64 v[3:4], v[4:5], v[6:7]
	s_branch .LBB9_174
.LBB9_172:
	s_mov_b32 s1, -1
                                        ; implicit-def: $vgpr3_vgpr4
.LBB9_173:
	s_mov_b32 s23, 0
.LBB9_174:
	s_and_b32 vcc_lo, exec_lo, s23
	s_cbranch_vccz .LBB9_194
; %bb.175:
	s_cmp_lt_i32 s0, 27
	s_cbranch_scc1 .LBB9_178
; %bb.176:
	s_cmp_gt_i32 s0, 27
	s_cbranch_scc0 .LBB9_179
; %bb.177:
	global_load_dword v3, v[0:1], off
	s_mov_b32 s22, 0
	s_waitcnt vmcnt(0)
	v_cvt_f64_u32_e32 v[3:4], v3
	s_branch .LBB9_180
.LBB9_178:
	s_mov_b32 s22, -1
                                        ; implicit-def: $vgpr3_vgpr4
	s_branch .LBB9_183
.LBB9_179:
	s_mov_b32 s22, -1
                                        ; implicit-def: $vgpr3_vgpr4
.LBB9_180:
	s_andn2_b32 vcc_lo, exec_lo, s22
	s_cbranch_vccnz .LBB9_182
; %bb.181:
	global_load_ushort v3, v[0:1], off
	s_waitcnt vmcnt(0)
	v_cvt_f64_u32_e32 v[3:4], v3
.LBB9_182:
	s_mov_b32 s22, 0
.LBB9_183:
	s_andn2_b32 vcc_lo, exec_lo, s22
	s_cbranch_vccnz .LBB9_193
; %bb.184:
	global_load_ubyte v5, v[0:1], off
	s_mov_b32 s22, 0
	s_mov_b32 s23, exec_lo
	s_waitcnt vmcnt(0)
	v_cmpx_lt_i16_e32 0x7f, v5
	s_xor_b32 s23, exec_lo, s23
	s_cbranch_execz .LBB9_188
; %bb.185:
	s_mov_b32 s22, -1
	s_mov_b32 s36, exec_lo
	v_cmpx_eq_u16_e32 0x80, v5
; %bb.186:
	s_xor_b32 s22, exec_lo, -1
; %bb.187:
	s_or_b32 exec_lo, exec_lo, s36
	s_and_b32 s22, s22, exec_lo
.LBB9_188:
	s_or_saveexec_b32 s23, s23
	v_bfrev_b32_e32 v3, 4
	v_mov_b32_e32 v4, 0x7ff80000
	s_xor_b32 exec_lo, exec_lo, s23
; %bb.189:
	v_cmp_ne_u16_e32 vcc_lo, 0, v5
	v_mov_b32_e32 v3, 0
	v_mov_b32_e32 v4, 0
	s_andn2_b32 s22, s22, exec_lo
	s_and_b32 s36, vcc_lo, exec_lo
	s_or_b32 s22, s22, s36
; %bb.190:
	s_or_b32 exec_lo, exec_lo, s23
	s_and_saveexec_b32 s23, s22
	s_cbranch_execz .LBB9_192
; %bb.191:
	v_and_b32_e32 v3, 0xffff, v5
	v_lshlrev_b32_e32 v5, 24, v5
	v_and_b32_e32 v4, 7, v3
	v_bfe_u32 v8, v3, 3, 4
	v_ffbh_u32_e32 v6, v4
	v_cmp_eq_u32_e32 vcc_lo, 0, v8
	v_min_u32_e32 v6, 32, v6
	v_subrev_nc_u32_e32 v7, 28, v6
	v_sub_nc_u32_e32 v6, 29, v6
	v_lshlrev_b32_e32 v3, v7, v3
	v_cndmask_b32_e32 v6, v8, v6, vcc_lo
	v_and_b32_e32 v3, 7, v3
	v_cndmask_b32_e32 v3, v4, v3, vcc_lo
	v_and_b32_e32 v4, 0x80000000, v5
	v_lshl_add_u32 v5, v6, 23, 0x3b800000
	v_lshlrev_b32_e32 v3, 20, v3
	v_or3_b32 v3, v4, v5, v3
	v_cvt_f64_f32_e32 v[3:4], v3
.LBB9_192:
	s_or_b32 exec_lo, exec_lo, s23
.LBB9_193:
	s_mov_b32 s22, -1
.LBB9_194:
	s_branch .LBB9_227
.LBB9_195:
	s_cmp_gt_i32 s0, 22
	s_cbranch_scc0 .LBB9_207
; %bb.196:
	s_cmp_lt_i32 s0, 24
	s_cbranch_scc1 .LBB9_208
; %bb.197:
	s_cmp_gt_i32 s0, 24
	s_cbranch_scc0 .LBB9_209
; %bb.198:
	global_load_ubyte v5, v[0:1], off
	s_mov_b32 s22, 0
	s_mov_b32 s23, exec_lo
	s_waitcnt vmcnt(0)
	v_cmpx_lt_i16_e32 0x7f, v5
	s_xor_b32 s23, exec_lo, s23
	s_cbranch_execz .LBB9_202
; %bb.199:
	s_mov_b32 s22, -1
	s_mov_b32 s36, exec_lo
	v_cmpx_eq_u16_e32 0x80, v5
; %bb.200:
	s_xor_b32 s22, exec_lo, -1
; %bb.201:
	s_or_b32 exec_lo, exec_lo, s36
	s_and_b32 s22, s22, exec_lo
.LBB9_202:
	s_or_saveexec_b32 s23, s23
	v_bfrev_b32_e32 v3, 4
	v_mov_b32_e32 v4, 0x7ff80000
	s_xor_b32 exec_lo, exec_lo, s23
; %bb.203:
	v_cmp_ne_u16_e32 vcc_lo, 0, v5
	v_mov_b32_e32 v3, 0
	v_mov_b32_e32 v4, 0
	s_andn2_b32 s22, s22, exec_lo
	s_and_b32 s36, vcc_lo, exec_lo
	s_or_b32 s22, s22, s36
; %bb.204:
	s_or_b32 exec_lo, exec_lo, s23
	s_and_saveexec_b32 s23, s22
	s_cbranch_execz .LBB9_206
; %bb.205:
	v_and_b32_e32 v3, 0xffff, v5
	v_lshlrev_b32_e32 v5, 24, v5
	v_and_b32_e32 v4, 3, v3
	v_bfe_u32 v8, v3, 2, 5
	v_ffbh_u32_e32 v6, v4
	v_cmp_eq_u32_e32 vcc_lo, 0, v8
	v_min_u32_e32 v6, 32, v6
	v_subrev_nc_u32_e32 v7, 29, v6
	v_sub_nc_u32_e32 v6, 30, v6
	v_lshlrev_b32_e32 v3, v7, v3
	v_cndmask_b32_e32 v6, v8, v6, vcc_lo
	v_and_b32_e32 v3, 3, v3
	v_cndmask_b32_e32 v3, v4, v3, vcc_lo
	v_and_b32_e32 v4, 0x80000000, v5
	v_lshl_add_u32 v5, v6, 23, 0x37800000
	v_lshlrev_b32_e32 v3, 21, v3
	v_or3_b32 v3, v4, v5, v3
	v_cvt_f64_f32_e32 v[3:4], v3
.LBB9_206:
	s_or_b32 exec_lo, exec_lo, s23
	s_mov_b32 s22, 0
	s_branch .LBB9_210
.LBB9_207:
	s_mov_b32 s23, -1
                                        ; implicit-def: $vgpr3_vgpr4
	s_branch .LBB9_216
.LBB9_208:
	s_mov_b32 s22, -1
                                        ; implicit-def: $vgpr3_vgpr4
	s_branch .LBB9_213
.LBB9_209:
	s_mov_b32 s22, -1
                                        ; implicit-def: $vgpr3_vgpr4
.LBB9_210:
	s_and_b32 vcc_lo, exec_lo, s22
	s_cbranch_vccz .LBB9_212
; %bb.211:
	global_load_ubyte v3, v[0:1], off
	s_waitcnt vmcnt(0)
	v_lshlrev_b32_e32 v3, 24, v3
	v_and_b32_e32 v4, 0x7f000000, v3
	v_ffbh_u32_e32 v5, v4
	v_add_nc_u32_e32 v7, 0x1000000, v4
	v_cmp_ne_u32_e32 vcc_lo, 0, v4
	v_min_u32_e32 v5, 32, v5
	v_sub_nc_u32_e64 v5, v5, 4 clamp
	v_lshlrev_b32_e32 v6, v5, v4
	v_lshlrev_b32_e32 v5, 23, v5
	v_lshrrev_b32_e32 v6, 4, v6
	v_sub_nc_u32_e32 v5, v6, v5
	v_ashrrev_i32_e32 v6, 8, v7
	v_add_nc_u32_e32 v5, 0x3c000000, v5
	v_and_or_b32 v5, 0x7f800000, v6, v5
	v_cndmask_b32_e32 v4, 0, v5, vcc_lo
	v_and_or_b32 v3, 0x80000000, v3, v4
	v_cvt_f64_f32_e32 v[3:4], v3
.LBB9_212:
	s_mov_b32 s22, 0
.LBB9_213:
	s_andn2_b32 vcc_lo, exec_lo, s22
	s_cbranch_vccnz .LBB9_215
; %bb.214:
	global_load_ubyte v3, v[0:1], off
	s_waitcnt vmcnt(0)
	v_lshlrev_b32_e32 v4, 25, v3
	v_lshlrev_b16 v3, 8, v3
	v_lshrrev_b32_e32 v5, 4, v4
	v_and_or_b32 v6, 0x7f00, v3, 0.5
	v_cmp_gt_u32_e32 vcc_lo, 0x8000000, v4
	v_bfe_i32 v3, v3, 0, 16
	v_or_b32_e32 v5, 0x70000000, v5
	v_add_f32_e32 v6, -0.5, v6
	v_mul_f32_e32 v5, 0x7800000, v5
	v_cndmask_b32_e32 v4, v5, v6, vcc_lo
	v_and_or_b32 v3, 0x80000000, v3, v4
	v_cvt_f64_f32_e32 v[3:4], v3
.LBB9_215:
	s_mov_b32 s23, 0
	s_mov_b32 s22, -1
.LBB9_216:
	s_andn2_b32 vcc_lo, exec_lo, s23
	s_cbranch_vccnz .LBB9_227
; %bb.217:
	s_cmp_gt_i32 s0, 14
	s_cbranch_scc0 .LBB9_220
; %bb.218:
	s_cmp_eq_u32 s0, 15
	s_cbranch_scc0 .LBB9_221
; %bb.219:
	global_load_ushort v3, v[0:1], off
	s_mov_b32 s22, -1
	s_mov_b32 s1, 0
	s_waitcnt vmcnt(0)
	v_lshlrev_b32_e32 v3, 16, v3
	v_cvt_f64_f32_e32 v[3:4], v3
	s_branch .LBB9_222
.LBB9_220:
	s_mov_b32 s23, -1
                                        ; implicit-def: $vgpr3_vgpr4
	s_branch .LBB9_223
.LBB9_221:
	s_mov_b32 s1, -1
                                        ; implicit-def: $vgpr3_vgpr4
.LBB9_222:
	s_mov_b32 s23, 0
.LBB9_223:
	s_and_b32 vcc_lo, exec_lo, s23
	s_cbranch_vccz .LBB9_227
; %bb.224:
	s_cmp_eq_u32 s0, 11
	s_cbranch_scc0 .LBB9_226
; %bb.225:
	global_load_ubyte v3, v[0:1], off
	s_mov_b32 s1, 0
	s_mov_b32 s22, -1
	s_waitcnt vmcnt(0)
	v_cmp_ne_u16_e32 vcc_lo, 0, v3
	v_mov_b32_e32 v3, 0
	v_cndmask_b32_e64 v4, 0, 0x3ff00000, vcc_lo
	s_branch .LBB9_227
.LBB9_226:
	s_mov_b32 s1, -1
                                        ; implicit-def: $vgpr3_vgpr4
.LBB9_227:
	s_branch .LBB9_24
.LBB9_228:
	s_cmp_lt_i32 s0, 5
	s_cbranch_scc1 .LBB9_233
; %bb.229:
	s_cmp_lt_i32 s0, 8
	s_cbranch_scc1 .LBB9_234
; %bb.230:
	;; [unrolled: 3-line block ×3, first 2 shown]
	s_cmp_gt_i32 s0, 9
	s_cbranch_scc0 .LBB9_236
; %bb.232:
	global_load_dwordx2 v[3:4], v[0:1], off
	s_mov_b32 s22, 0
	s_branch .LBB9_237
.LBB9_233:
                                        ; implicit-def: $vgpr3_vgpr4
	s_branch .LBB9_255
.LBB9_234:
	s_mov_b32 s22, -1
                                        ; implicit-def: $vgpr3_vgpr4
	s_branch .LBB9_243
.LBB9_235:
	s_mov_b32 s22, -1
                                        ; implicit-def: $vgpr3_vgpr4
	s_branch .LBB9_240
.LBB9_236:
	s_mov_b32 s22, -1
                                        ; implicit-def: $vgpr3_vgpr4
.LBB9_237:
	s_andn2_b32 vcc_lo, exec_lo, s22
	s_cbranch_vccnz .LBB9_239
; %bb.238:
	global_load_dword v3, v[0:1], off
	s_waitcnt vmcnt(0)
	v_cvt_f64_f32_e32 v[3:4], v3
.LBB9_239:
	s_mov_b32 s22, 0
.LBB9_240:
	s_andn2_b32 vcc_lo, exec_lo, s22
	s_cbranch_vccnz .LBB9_242
; %bb.241:
	global_load_dword v3, v[0:1], off
	s_waitcnt vmcnt(0)
	v_cvt_f32_f16_e32 v3, v3
	v_cvt_f64_f32_e32 v[3:4], v3
.LBB9_242:
	s_mov_b32 s22, 0
.LBB9_243:
	s_andn2_b32 vcc_lo, exec_lo, s22
	s_cbranch_vccnz .LBB9_254
; %bb.244:
	s_cmp_lt_i32 s0, 6
	s_cbranch_scc1 .LBB9_247
; %bb.245:
	s_cmp_gt_i32 s0, 6
	s_cbranch_scc0 .LBB9_248
; %bb.246:
	global_load_dwordx2 v[3:4], v[0:1], off
	s_mov_b32 s22, 0
	s_branch .LBB9_249
.LBB9_247:
	s_mov_b32 s22, -1
                                        ; implicit-def: $vgpr3_vgpr4
	s_branch .LBB9_252
.LBB9_248:
	s_mov_b32 s22, -1
                                        ; implicit-def: $vgpr3_vgpr4
.LBB9_249:
	s_andn2_b32 vcc_lo, exec_lo, s22
	s_cbranch_vccnz .LBB9_251
; %bb.250:
	global_load_dword v3, v[0:1], off
	s_waitcnt vmcnt(0)
	v_cvt_f64_f32_e32 v[3:4], v3
.LBB9_251:
	s_mov_b32 s22, 0
.LBB9_252:
	s_andn2_b32 vcc_lo, exec_lo, s22
	s_cbranch_vccnz .LBB9_254
; %bb.253:
	global_load_ushort v3, v[0:1], off
	s_waitcnt vmcnt(0)
	v_cvt_f32_f16_e32 v3, v3
	v_cvt_f64_f32_e32 v[3:4], v3
.LBB9_254:
	s_cbranch_execnz .LBB9_274
.LBB9_255:
	s_cmp_lt_i32 s0, 2
	s_cbranch_scc1 .LBB9_259
; %bb.256:
	s_cmp_lt_i32 s0, 3
	s_cbranch_scc1 .LBB9_260
; %bb.257:
	s_cmp_gt_i32 s0, 3
	s_cbranch_scc0 .LBB9_261
; %bb.258:
	global_load_dwordx2 v[3:4], v[0:1], off
	s_mov_b32 s22, 0
	s_waitcnt vmcnt(0)
	v_cvt_f64_i32_e32 v[4:5], v4
	v_cvt_f64_u32_e32 v[6:7], v3
	v_ldexp_f64 v[4:5], v[4:5], 32
	v_add_f64 v[3:4], v[4:5], v[6:7]
	s_branch .LBB9_262
.LBB9_259:
	s_mov_b32 s22, -1
                                        ; implicit-def: $vgpr3_vgpr4
	s_branch .LBB9_268
.LBB9_260:
	s_mov_b32 s22, -1
                                        ; implicit-def: $vgpr3_vgpr4
	s_branch .LBB9_265
.LBB9_261:
	s_mov_b32 s22, -1
                                        ; implicit-def: $vgpr3_vgpr4
.LBB9_262:
	s_andn2_b32 vcc_lo, exec_lo, s22
	s_cbranch_vccnz .LBB9_264
; %bb.263:
	global_load_dword v3, v[0:1], off
	s_waitcnt vmcnt(0)
	v_cvt_f64_i32_e32 v[3:4], v3
.LBB9_264:
	s_mov_b32 s22, 0
.LBB9_265:
	s_andn2_b32 vcc_lo, exec_lo, s22
	s_cbranch_vccnz .LBB9_267
; %bb.266:
	global_load_sshort v3, v[0:1], off
	s_waitcnt vmcnt(0)
	v_cvt_f64_i32_e32 v[3:4], v3
.LBB9_267:
	s_mov_b32 s22, 0
.LBB9_268:
	s_andn2_b32 vcc_lo, exec_lo, s22
	s_cbranch_vccnz .LBB9_274
; %bb.269:
	s_cmp_gt_i32 s0, 0
	s_mov_b32 s0, 0
	s_cbranch_scc0 .LBB9_271
; %bb.270:
	global_load_sbyte v3, v[0:1], off
	s_waitcnt vmcnt(0)
	v_cvt_f64_i32_e32 v[3:4], v3
	s_branch .LBB9_272
.LBB9_271:
	s_mov_b32 s0, -1
                                        ; implicit-def: $vgpr3_vgpr4
.LBB9_272:
	s_andn2_b32 vcc_lo, exec_lo, s0
	s_cbranch_vccnz .LBB9_274
; %bb.273:
	global_load_ubyte v0, v[0:1], off
	s_waitcnt vmcnt(0)
	v_cvt_f64_u32_e32 v[3:4], v0
.LBB9_274:
	s_branch .LBB9_25
.LBB9_275:
	s_mov_b32 s0, 0
.LBB9_276:
	s_mov_b32 s22, 0
                                        ; implicit-def: $vgpr11
.LBB9_277:
	s_and_b32 s36, s0, exec_lo
	s_and_b32 s37, s1, exec_lo
	s_orn2_b32 s1, s22, exec_lo
.LBB9_278:
	s_or_b32 exec_lo, exec_lo, s38
	s_mov_b32 s22, 0
	s_mov_b32 s0, 0
                                        ; implicit-def: $vgpr0_vgpr1
                                        ; implicit-def: $vgpr2
                                        ; implicit-def: $vgpr3_vgpr4
	s_and_saveexec_b32 s38, s1
	s_cbranch_execz .LBB9_285
; %bb.279:
	s_mov_b32 s0, -1
	s_mov_b32 s39, s37
	s_mov_b32 s40, s36
	s_mov_b32 s41, exec_lo
	v_cmpx_gt_i32_e64 s33, v11
	s_cbranch_execz .LBB9_567
; %bb.280:
	s_andn2_b32 vcc_lo, exec_lo, s27
	s_cbranch_vccnz .LBB9_288
; %bb.281:
	s_andn2_b32 vcc_lo, exec_lo, s34
	s_cbranch_vccnz .LBB9_289
; %bb.282:
	s_add_i32 s40, s35, 1
	s_cmp_eq_u32 s25, 2
	s_cbranch_scc1 .LBB9_290
; %bb.283:
	v_mov_b32_e32 v0, 0
	v_mov_b32_e32 v2, 0
	;; [unrolled: 1-line block ×3, first 2 shown]
	s_and_b32 s39, s40, 28
	s_mov_b32 s42, 0
	s_mov_b64 s[0:1], s[2:3]
	s_mov_b64 s[22:23], s[20:21]
.LBB9_284:                              ; =>This Inner Loop Header: Depth=1
	s_clause 0x1
	s_load_dwordx8 s[44:51], s[0:1], 0x4
	s_load_dwordx4 s[60:63], s[0:1], 0x24
	s_load_dwordx8 s[52:59], s[22:23], 0x0
	s_add_u32 s0, s0, 48
	s_addc_u32 s1, s1, 0
	s_add_i32 s42, s42, 4
	s_add_u32 s22, s22, 32
	s_addc_u32 s23, s23, 0
	s_cmp_eq_u32 s39, s42
	s_waitcnt vmcnt(0) lgkmcnt(0)
	v_mul_hi_u32 v3, s45, v1
	v_add_nc_u32_e32 v3, v1, v3
	v_lshrrev_b32_e32 v3, s46, v3
	v_mul_hi_u32 v4, s48, v3
	v_mul_lo_u32 v6, v3, s44
	v_add_nc_u32_e32 v4, v3, v4
	v_sub_nc_u32_e32 v1, v1, v6
	v_lshrrev_b32_e32 v4, s49, v4
	v_mul_lo_u32 v6, v1, s52
	v_mul_lo_u32 v8, v1, s53
	v_mul_hi_u32 v5, s51, v4
	v_add_nc_u32_e32 v5, v4, v5
	v_lshrrev_b32_e32 v5, s60, v5
	v_mul_hi_u32 v7, s62, v5
	v_mul_lo_u32 v9, v5, s50
	v_add_nc_u32_e32 v1, v5, v7
	v_mul_lo_u32 v7, v4, s47
	v_sub_nc_u32_e32 v4, v4, v9
	v_lshrrev_b32_e32 v1, s63, v1
	v_mul_lo_u32 v9, v4, s56
	v_mul_lo_u32 v4, v4, s57
	v_sub_nc_u32_e32 v3, v3, v7
	v_mul_lo_u32 v10, v1, s61
	v_mul_lo_u32 v7, v3, s54
	;; [unrolled: 1-line block ×3, first 2 shown]
	v_sub_nc_u32_e32 v5, v5, v10
	v_add3_u32 v2, v6, v2, v7
	v_mul_lo_u32 v10, v5, s58
	v_mul_lo_u32 v5, v5, s59
	v_add3_u32 v0, v8, v0, v3
	v_add3_u32 v2, v9, v2, v10
	;; [unrolled: 1-line block ×3, first 2 shown]
	s_cbranch_scc0 .LBB9_284
	s_branch .LBB9_291
.LBB9_285:
	s_or_b32 exec_lo, exec_lo, s38
	s_mov_b32 s1, 0
	s_waitcnt lgkmcnt(0)
	s_and_saveexec_b32 s6, s37
	s_cbranch_execnz .LBB9_957
.LBB9_286:
	s_or_b32 exec_lo, exec_lo, s6
	s_and_saveexec_b32 s6, s39
	s_xor_b32 s6, exec_lo, s6
	s_cbranch_execz .LBB9_958
.LBB9_287:
	global_load_ubyte v3, v[0:1], off
	s_or_b32 s0, s0, exec_lo
	s_waitcnt vmcnt(0)
	v_cmp_ne_u16_e32 vcc_lo, 0, v3
	v_mov_b32_e32 v3, 0
	v_cndmask_b32_e64 v4, 0, 0x3ff00000, vcc_lo
	s_or_b32 exec_lo, exec_lo, s6
	s_and_saveexec_b32 s6, s22
	s_cbranch_execz .LBB9_1004
	s_branch .LBB9_959
.LBB9_288:
                                        ; implicit-def: $vgpr2
                                        ; implicit-def: $vgpr0
	s_andn2_b32 vcc_lo, exec_lo, s0
	s_cbranch_vccz .LBB9_295
	s_branch .LBB9_297
.LBB9_289:
	v_mov_b32_e32 v2, 0
	v_mov_b32_e32 v0, 0
	s_branch .LBB9_294
.LBB9_290:
	v_mov_b32_e32 v2, 0
	v_mov_b32_e32 v0, 0
	;; [unrolled: 1-line block ×3, first 2 shown]
	s_mov_b32 s39, 0
.LBB9_291:
	s_and_b32 s40, s40, 3
	s_cmp_eq_u32 s40, 0
	s_cbranch_scc1 .LBB9_294
; %bb.292:
	s_lshl_b32 s0, s39, 3
	s_mul_i32 s22, s39, 12
	s_add_u32 s0, s2, s0
	s_addc_u32 s1, s3, 0
	s_add_u32 s0, s0, 0xc4
	s_addc_u32 s1, s1, 0
	;; [unrolled: 2-line block ×3, first 2 shown]
	.p2align	6
.LBB9_293:                              ; =>This Inner Loop Header: Depth=1
	s_clause 0x1
	s_load_dwordx2 s[42:43], s[22:23], 0x4
	s_load_dword s39, s[22:23], 0xc
	s_load_dwordx2 s[44:45], s[0:1], 0x0
	s_add_u32 s22, s22, 12
	s_addc_u32 s23, s23, 0
	s_add_u32 s0, s0, 8
	s_addc_u32 s1, s1, 0
	s_add_i32 s40, s40, -1
	s_cmp_lg_u32 s40, 0
	s_waitcnt vmcnt(0) lgkmcnt(0)
	v_mul_hi_u32 v3, s43, v1
	v_add_nc_u32_e32 v3, v1, v3
	v_lshrrev_b32_e32 v4, s39, v3
	v_mul_lo_u32 v3, v4, s42
	v_sub_nc_u32_e32 v1, v1, v3
	v_mad_u64_u32 v[2:3], null, v1, s44, v[2:3]
	v_mad_u64_u32 v[0:1], null, v1, s45, v[0:1]
	v_mov_b32_e32 v1, v4
	s_cbranch_scc1 .LBB9_293
.LBB9_294:
	s_cbranch_execnz .LBB9_297
.LBB9_295:
	s_waitcnt lgkmcnt(0)
	v_mul_hi_u32 v0, s17, v11
	s_andn2_b32 vcc_lo, exec_lo, s31
	v_add_nc_u32_e32 v0, v11, v0
	v_lshrrev_b32_e32 v1, s18, v0
	v_mul_lo_u32 v0, v1, s16
	v_sub_nc_u32_e32 v0, v11, v0
	v_mul_lo_u32 v2, v0, s12
	v_mul_lo_u32 v0, v0, s13
	s_cbranch_vccnz .LBB9_297
; %bb.296:
	s_waitcnt vmcnt(0)
	v_mul_hi_u32 v3, s6, v1
	v_add_nc_u32_e32 v3, v1, v3
	v_lshrrev_b32_e32 v3, s7, v3
	v_mul_lo_u32 v3, v3, s19
	v_sub_nc_u32_e32 v1, v1, v3
	v_mad_u64_u32 v[2:3], null, v1, s14, v[2:3]
	v_mad_u64_u32 v[0:1], null, v1, s15, v[0:1]
.LBB9_297:
	s_waitcnt lgkmcnt(0)
	v_add_co_u32 v0, s0, s10, v0
	v_add_co_ci_u32_e64 v1, null, s11, 0, s0
	s_and_b32 s0, 0xffff, s30
	s_cmp_lt_i32 s0, 11
	s_cbranch_scc1 .LBB9_304
; %bb.298:
	s_cmp_gt_i32 s0, 25
	s_cbranch_scc0 .LBB9_325
; %bb.299:
	s_cmp_gt_i32 s0, 28
	s_cbranch_scc0 .LBB9_327
	;; [unrolled: 3-line block ×4, first 2 shown]
; %bb.302:
	s_cmp_eq_u32 s0, 46
	s_mov_b32 s23, 0
	s_cbranch_scc0 .LBB9_337
; %bb.303:
	global_load_dword v3, v[0:1], off
	s_mov_b32 s22, -1
	s_mov_b32 s1, 0
	s_waitcnt vmcnt(0)
	v_lshlrev_b32_e32 v3, 16, v3
	v_cvt_f64_f32_e32 v[3:4], v3
	s_branch .LBB9_339
.LBB9_304:
	s_mov_b32 s22, 0
	s_mov_b32 s1, s37
                                        ; implicit-def: $vgpr3_vgpr4
	s_cbranch_execnz .LBB9_516
.LBB9_305:
	s_andn2_b32 vcc_lo, exec_lo, s22
	s_cbranch_vccnz .LBB9_564
.LBB9_306:
	s_waitcnt vmcnt(0)
	v_cmp_ge_f64_e64 s0, 0x40200000, |v[3:4]|
                                        ; implicit-def: $vgpr0_vgpr1
	s_and_saveexec_b32 s22, s0
	s_xor_b32 s0, exec_lo, s22
	s_cbranch_execz .LBB9_312
; %bb.307:
	v_fma_f64 v[0:1], |v[3:4]|, 0.5, -2.0
	s_mov_b32 s22, 0xc38a0576
	s_mov_b32 s23, 0xbc7857d0
	;; [unrolled: 1-line block ×4, first 2 shown]
	v_fma_f64 v[5:6], v[0:1], s[42:43], s[22:23]
	s_mov_b32 s43, 0xbc499f2a
	s_mov_b32 s22, 0xe593bfac
	;; [unrolled: 1-line block ×3, first 2 shown]
	v_fma_f64 v[7:8], v[0:1], v[5:6], s[42:43]
	s_mov_b32 s42, 0x3b39803f
	s_mov_b32 s43, 0xbc7abc9e
	v_add_f64 v[7:8], v[7:8], s[22:23]
	s_mov_b32 s22, 0x7e0d1573
	s_mov_b32 s23, 0xbcd3eaaa
	v_fma_f64 v[5:6], v[0:1], v[7:8], -v[5:6]
	v_add_f64 v[5:6], v[5:6], s[22:23]
	s_mov_b32 s22, 0x615290c
	s_mov_b32 s23, 0x3d011d7f
	v_fma_f64 v[7:8], v[0:1], v[5:6], -v[7:8]
	;; [unrolled: 4-line block ×20, first 2 shown]
	v_add_f64 v[7:8], v[7:8], s[22:23]
	s_mov_b32 s22, 0x652b82fe
	s_mov_b32 s23, 0x3ff71547
	v_mul_f64 v[9:10], |v[3:4]|, s[22:23]
	s_mov_b32 s22, 0x7913a26a
	s_mov_b32 s23, 0xbf85a29f
	v_fma_f64 v[5:6], v[0:1], v[7:8], -v[5:6]
	v_rndne_f64_e32 v[9:10], v[9:10]
	v_add_f64 v[5:6], v[5:6], s[22:23]
	s_mov_b32 s22, 0xfefa39ef
	s_mov_b32 s23, 0xbfe62e42
	v_fma_f64 v[12:13], v[9:10], s[22:23], |v[3:4]|
	s_mov_b32 s22, 0xe7bb2349
	s_mov_b32 s23, 0x3f9951e3
	v_fma_f64 v[7:8], v[0:1], v[5:6], -v[7:8]
	v_fma_f64 v[12:13], v[9:10], s[42:43], v[12:13]
	s_mov_b32 s42, 0x6a5dcb37
	s_mov_b32 s43, 0x3e5ade15
	v_cvt_i32_f64_e32 v9, v[9:10]
	v_add_f64 v[7:8], v[7:8], s[22:23]
	s_mov_b32 s22, 0xfca7ab0c
	s_mov_b32 s23, 0x3e928af3
	v_fma_f64 v[14:15], v[12:13], s[42:43], s[22:23]
	s_mov_b32 s22, 0x537c9ebc
	s_mov_b32 s42, 0x623fde64
	s_mov_b32 s23, 0xbfab1bbc
	s_mov_b32 s43, 0x3ec71dee
	v_fma_f64 v[5:6], v[0:1], v[7:8], -v[5:6]
	v_fma_f64 v[14:15], v[12:13], v[14:15], s[42:43]
	s_mov_b32 s42, 0x14761f6e
	s_mov_b32 s43, 0x3f2a01a0
	v_add_f64 v[5:6], v[5:6], s[22:23]
	s_mov_b32 s22, 0x7c89e6b0
	s_mov_b32 s23, 0x3efa0199
	v_fma_f64 v[14:15], v[12:13], v[14:15], s[22:23]
	s_mov_b32 s22, 0xd536f53c
	s_mov_b32 s23, 0x3fba46da
	v_fma_f64 v[7:8], v[0:1], v[5:6], -v[7:8]
	v_fma_f64 v[14:15], v[12:13], v[14:15], s[42:43]
	s_mov_b32 s42, 0x11122322
	s_mov_b32 s43, 0x3f811111
	v_add_f64 v[7:8], v[7:8], s[22:23]
	s_mov_b32 s22, 0x1852b7b0
	s_mov_b32 s23, 0x3f56c16c
	v_fma_f64 v[14:15], v[12:13], v[14:15], s[22:23]
	s_mov_b32 s22, 0x469192e
	s_mov_b32 s23, 0xbfc694d1
	;; [unrolled: 10-line block ×3, first 2 shown]
	v_fma_f64 v[0:1], v[0:1], v[5:6], -v[7:8]
	v_fma_f64 v[5:6], v[12:13], v[14:15], s[42:43]
	v_add_f64 v[0:1], v[0:1], s[22:23]
	s_mov_b32 s22, 11
	s_mov_b32 s23, 0x3fe00000
	v_fma_f64 v[5:6], v[12:13], v[5:6], s[22:23]
	s_mov_b32 s22, exec_lo
	v_add_f64 v[0:1], v[0:1], -v[7:8]
	v_fma_f64 v[5:6], v[12:13], v[5:6], 1.0
	v_mul_f64 v[0:1], v[0:1], 0.5
	v_fma_f64 v[7:8], v[12:13], v[5:6], 1.0
	v_mul_f64 v[5:6], |v[3:4]|, v[0:1]
                                        ; implicit-def: $vgpr0_vgpr1
	v_cmpx_ngt_f64_e32 0, v[3:4]
	s_xor_b32 s22, exec_lo, s22
	s_cbranch_execz .LBB9_309
; %bb.308:
	v_ldexp_f64 v[0:1], v[7:8], v9
	v_cmp_nlt_f64_e64 vcc_lo, 0x40900000, |v[3:4]|
                                        ; implicit-def: $vgpr7_vgpr8
                                        ; implicit-def: $vgpr9
                                        ; implicit-def: $vgpr3_vgpr4
	v_cndmask_b32_e32 v1, 0x7ff00000, v1, vcc_lo
	v_cndmask_b32_e32 v0, 0, v0, vcc_lo
	v_mul_f64 v[0:1], v[0:1], v[5:6]
                                        ; implicit-def: $vgpr5_vgpr6
.LBB9_309:
	s_andn2_saveexec_b32 s22, s22
	s_cbranch_execz .LBB9_311
; %bb.310:
	v_ldexp_f64 v[0:1], -v[7:8], v9
	v_cmp_nlt_f64_e64 vcc_lo, 0x40900000, |v[3:4]|
	v_cndmask_b32_e32 v1, 0xfff00000, v1, vcc_lo
	v_cndmask_b32_e32 v0, 0, v0, vcc_lo
	v_mul_f64 v[0:1], v[0:1], v[5:6]
.LBB9_311:
	s_or_b32 exec_lo, exec_lo, s22
                                        ; implicit-def: $vgpr3_vgpr4
.LBB9_312:
	s_andn2_saveexec_b32 s22, s0
	s_cbranch_execz .LBB9_318
; %bb.313:
	v_and_b32_e32 v1, 0x7fffffff, v4
	v_mov_b32_e32 v0, v3
	s_mov_b32 s42, 0xea87b950
	s_mov_b32 s43, 0x3c545b8a
	;; [unrolled: 1-line block ×4, first 2 shown]
	v_div_scale_f64 v[5:6], null, v[0:1], v[0:1], 0x40400000
	v_div_scale_f64 v[0:1], vcc_lo, 0x40400000, v[0:1], 0x40400000
	v_cmp_ngt_f64_e64 s0, 0, v[3:4]
	v_rcp_f64_e32 v[7:8], v[5:6]
	v_fma_f64 v[9:10], -v[5:6], v[7:8], 1.0
	v_fma_f64 v[7:8], v[7:8], v[9:10], v[7:8]
	v_fma_f64 v[9:10], -v[5:6], v[7:8], 1.0
	v_fma_f64 v[7:8], v[7:8], v[9:10], v[7:8]
	v_mul_f64 v[9:10], v[0:1], v[7:8]
	v_fma_f64 v[0:1], -v[5:6], v[9:10], v[0:1]
	v_div_fmas_f64 v[0:1], v[0:1], v[7:8], v[9:10]
	v_cmp_nlt_f64_e64 vcc_lo, 0x40900000, |v[3:4]|
	v_div_fixup_f64 v[0:1], v[0:1], |v[3:4]|, 0x40400000
	v_add_f64 v[0:1], v[0:1], -2.0
	v_fma_f64 v[5:6], v[0:1], s[44:45], s[42:43]
	s_mov_b32 s45, 0xbc61556d
	s_mov_b32 s42, 0xb2532277
	s_mov_b32 s43, 0xbc8acea3
	v_fma_f64 v[7:8], v[0:1], v[5:6], s[44:45]
	s_mov_b32 s44, 0x6a5dcb37
	s_mov_b32 s45, 0x3e5ade15
	v_add_f64 v[7:8], v[7:8], s[42:43]
	s_mov_b32 s42, 0x9c773320
	s_mov_b32 s43, 0xbc82806c
	v_fma_f64 v[5:6], v[0:1], v[7:8], -v[5:6]
	v_add_f64 v[5:6], v[5:6], s[42:43]
	s_mov_b32 s42, 0xfceb588a
	s_mov_b32 s43, 0x3cb55915
	v_fma_f64 v[7:8], v[0:1], v[5:6], -v[7:8]
	;; [unrolled: 4-line block ×14, first 2 shown]
	v_add_f64 v[7:8], v[7:8], s[42:43]
	s_mov_b32 s42, 0x652b82fe
	s_mov_b32 s43, 0x3ff71547
	v_mul_f64 v[9:10], |v[3:4]|, s[42:43]
	s_mov_b32 s42, 0x5423dd80
	s_mov_b32 s43, 0xbe0334ca
	v_fma_f64 v[5:6], v[0:1], v[7:8], -v[5:6]
	v_rndne_f64_e32 v[9:10], v[9:10]
	v_add_f64 v[5:6], v[5:6], s[42:43]
	s_mov_b32 s42, 0xfefa39ef
	s_mov_b32 s43, 0xbfe62e42
	v_fma_f64 v[12:13], v[9:10], s[42:43], |v[3:4]|
	s_mov_b32 s42, 0x9ad53528
	s_mov_b32 s43, 0xbe30790b
	v_fma_f64 v[7:8], v[0:1], v[5:6], -v[7:8]
	v_add_f64 v[7:8], v[7:8], s[42:43]
	s_mov_b32 s42, 0x3b39803f
	s_mov_b32 s43, 0xbc7abc9e
	v_fma_f64 v[12:13], v[9:10], s[42:43], v[12:13]
	s_mov_b32 s42, 0xfca7ab0c
	s_mov_b32 s43, 0x3e928af3
	v_cvt_i32_f64_e32 v9, v[9:10]
	v_fma_f64 v[5:6], v[0:1], v[7:8], -v[5:6]
	v_fma_f64 v[14:15], v[12:13], s[44:45], s[42:43]
	s_mov_b32 s42, 0x94bb46c1
	s_mov_b32 s43, 0xbe5c4153
	v_add_f64 v[5:6], v[5:6], s[42:43]
	s_mov_b32 s42, 0x623fde64
	s_mov_b32 s43, 0x3ec71dee
	v_fma_f64 v[14:15], v[12:13], v[14:15], s[42:43]
	s_mov_b32 s42, 0x7c89e6b0
	s_mov_b32 s43, 0x3efa0199
	v_fma_f64 v[7:8], v[0:1], v[5:6], -v[7:8]
	v_fma_f64 v[14:15], v[12:13], v[14:15], s[42:43]
	s_mov_b32 s42, 0x2e9e5443
	s_mov_b32 s43, 0xbe90dbfd
	v_add_f64 v[7:8], v[7:8], s[42:43]
	s_mov_b32 s42, 0x14761f6e
	s_mov_b32 s43, 0x3f2a01a0
	v_fma_f64 v[14:15], v[12:13], v[14:15], s[42:43]
	s_mov_b32 s42, 0x1852b7b0
	s_mov_b32 s43, 0x3f56c16c
	;; [unrolled: 10-line block ×4, first 2 shown]
	v_fma_f64 v[5:6], v[0:1], v[7:8], -v[5:6]
	v_fma_f64 v[14:15], v[12:13], v[14:15], s[42:43]
	s_mov_b32 s42, 0x53fcdb4c
	s_mov_b32 s43, 0xbf83fda0
	v_add_f64 v[5:6], v[5:6], s[42:43]
	s_mov_b32 s42, 0xb55b1514
	s_mov_b32 s43, 0x3fe8ea18
	v_fma_f64 v[14:15], v[12:13], v[14:15], 1.0
	v_fma_f64 v[0:1], v[0:1], v[5:6], -v[7:8]
	v_fma_f64 v[5:6], v[12:13], v[14:15], 1.0
	v_add_f64 v[0:1], v[0:1], s[42:43]
	v_ldexp_f64 v[5:6], v[5:6], v9
	v_add_f64 v[7:8], v[0:1], -v[7:8]
                                        ; implicit-def: $vgpr0_vgpr1
	v_cndmask_b32_e32 v6, 0x7ff00000, v6, vcc_lo
	v_cndmask_b32_e32 v5, 0, v5, vcc_lo
	s_and_saveexec_b32 s23, s0
	s_xor_b32 s0, exec_lo, s23
	s_cbranch_execz .LBB9_315
; %bb.314:
	v_cmp_gt_f64_e64 s23, 0x10000000, |v[3:4]|
	v_mul_f64 v[7:8], v[7:8], 0.5
	v_cndmask_b32_e64 v0, 0, 0x100, s23
	v_mul_f64 v[5:6], v[5:6], v[7:8]
	v_ldexp_f64 v[0:1], |v[3:4]|, v0
	v_rsq_f64_e32 v[3:4], v[0:1]
	v_cmp_class_f64_e64 vcc_lo, v[0:1], 0x260
	v_mul_f64 v[9:10], v[0:1], v[3:4]
	v_mul_f64 v[3:4], v[3:4], 0.5
	v_fma_f64 v[12:13], -v[3:4], v[9:10], 0.5
	v_fma_f64 v[9:10], v[9:10], v[12:13], v[9:10]
	v_fma_f64 v[3:4], v[3:4], v[12:13], v[3:4]
	v_fma_f64 v[12:13], -v[9:10], v[9:10], v[0:1]
	v_fma_f64 v[9:10], v[12:13], v[3:4], v[9:10]
	v_fma_f64 v[12:13], -v[9:10], v[9:10], v[0:1]
	v_fma_f64 v[3:4], v[12:13], v[3:4], v[9:10]
	v_cndmask_b32_e64 v9, 0, 0xffffff80, s23
	v_ldexp_f64 v[3:4], v[3:4], v9
	v_cndmask_b32_e32 v1, v4, v1, vcc_lo
	v_cndmask_b32_e32 v0, v3, v0, vcc_lo
	v_div_scale_f64 v[3:4], null, v[0:1], v[0:1], v[5:6]
	v_rcp_f64_e32 v[7:8], v[3:4]
	v_fma_f64 v[9:10], -v[3:4], v[7:8], 1.0
	v_fma_f64 v[7:8], v[7:8], v[9:10], v[7:8]
	v_fma_f64 v[9:10], -v[3:4], v[7:8], 1.0
	v_fma_f64 v[7:8], v[7:8], v[9:10], v[7:8]
	v_div_scale_f64 v[9:10], vcc_lo, v[5:6], v[0:1], v[5:6]
	v_mul_f64 v[12:13], v[9:10], v[7:8]
	v_fma_f64 v[3:4], -v[3:4], v[12:13], v[9:10]
	v_div_fmas_f64 v[3:4], v[3:4], v[7:8], v[12:13]
                                        ; implicit-def: $vgpr7_vgpr8
	v_div_fixup_f64 v[0:1], v[3:4], v[0:1], v[5:6]
                                        ; implicit-def: $vgpr3_vgpr4
                                        ; implicit-def: $vgpr5_vgpr6
.LBB9_315:
	s_andn2_saveexec_b32 s0, s0
	s_cbranch_execz .LBB9_317
; %bb.316:
	v_cmp_gt_f64_e64 s23, 0x10000000, |v[3:4]|
	v_mul_f64 v[7:8], v[7:8], -0.5
	v_cndmask_b32_e64 v0, 0, 0x100, s23
	v_mul_f64 v[5:6], v[5:6], v[7:8]
	v_ldexp_f64 v[0:1], |v[3:4]|, v0
	v_rsq_f64_e32 v[3:4], v[0:1]
	v_cmp_class_f64_e64 vcc_lo, v[0:1], 0x260
	v_mul_f64 v[9:10], v[0:1], v[3:4]
	v_mul_f64 v[3:4], v[3:4], 0.5
	v_fma_f64 v[12:13], -v[3:4], v[9:10], 0.5
	v_fma_f64 v[9:10], v[9:10], v[12:13], v[9:10]
	v_fma_f64 v[3:4], v[3:4], v[12:13], v[3:4]
	v_fma_f64 v[12:13], -v[9:10], v[9:10], v[0:1]
	v_fma_f64 v[9:10], v[12:13], v[3:4], v[9:10]
	v_fma_f64 v[12:13], -v[9:10], v[9:10], v[0:1]
	v_fma_f64 v[3:4], v[12:13], v[3:4], v[9:10]
	v_cndmask_b32_e64 v9, 0, 0xffffff80, s23
	v_ldexp_f64 v[3:4], v[3:4], v9
	v_cndmask_b32_e32 v1, v4, v1, vcc_lo
	v_cndmask_b32_e32 v0, v3, v0, vcc_lo
	v_div_scale_f64 v[3:4], null, v[0:1], v[0:1], v[5:6]
	v_rcp_f64_e32 v[7:8], v[3:4]
	v_fma_f64 v[9:10], -v[3:4], v[7:8], 1.0
	v_fma_f64 v[7:8], v[7:8], v[9:10], v[7:8]
	v_fma_f64 v[9:10], -v[3:4], v[7:8], 1.0
	v_fma_f64 v[7:8], v[7:8], v[9:10], v[7:8]
	v_div_scale_f64 v[9:10], vcc_lo, v[5:6], v[0:1], v[5:6]
	v_mul_f64 v[12:13], v[9:10], v[7:8]
	v_fma_f64 v[3:4], -v[3:4], v[12:13], v[9:10]
	v_div_fmas_f64 v[3:4], v[3:4], v[7:8], v[12:13]
	v_div_fixup_f64 v[0:1], v[3:4], v[0:1], v[5:6]
.LBB9_317:
	s_or_b32 exec_lo, exec_lo, s0
.LBB9_318:
	s_or_b32 exec_lo, exec_lo, s22
	v_add_co_u32 v4, s0, s8, v2
	v_add_co_ci_u32_e64 v5, null, s9, 0, s0
	s_and_b32 s22, s29, 0xff
	s_cmp_lt_i32 s22, 11
	s_cbranch_scc1 .LBB9_326
; %bb.319:
	s_and_b32 s23, 0xffff, s22
	s_cmp_gt_i32 s23, 25
	s_cbranch_scc0 .LBB9_328
; %bb.320:
	s_cmp_gt_i32 s23, 28
	s_cbranch_scc0 .LBB9_330
; %bb.321:
	;; [unrolled: 3-line block ×4, first 2 shown]
	s_mov_b32 s40, 0
	s_mov_b32 s0, -1
	s_cmp_eq_u32 s23, 46
	s_mov_b32 s39, 0
	s_cbranch_scc0 .LBB9_343
; %bb.324:
	v_cvt_f32_f64_e32 v2, v[0:1]
	s_mov_b32 s39, -1
	s_mov_b32 s0, 0
	v_bfe_u32 v3, v2, 16, 1
	v_cmp_o_f32_e32 vcc_lo, v2, v2
	v_add3_u32 v2, v2, v3, 0x7fff
	v_mov_b32_e32 v3, 0x7fc0
	v_cndmask_b32_sdwa v2, v3, v2, vcc_lo dst_sel:DWORD dst_unused:UNUSED_PAD src0_sel:DWORD src1_sel:WORD_1
	global_store_dword v[4:5], v2, off
	s_branch .LBB9_343
.LBB9_325:
	s_mov_b32 s23, -1
	s_mov_b32 s22, 0
	s_mov_b32 s1, s37
                                        ; implicit-def: $vgpr3_vgpr4
	s_branch .LBB9_482
.LBB9_326:
	s_mov_b32 s23, -1
	s_mov_b32 s39, 0
	s_mov_b32 s0, s36
	s_branch .LBB9_412
.LBB9_327:
	s_mov_b32 s23, -1
	s_mov_b32 s22, 0
	s_mov_b32 s1, s37
                                        ; implicit-def: $vgpr3_vgpr4
	s_branch .LBB9_461
.LBB9_328:
	s_mov_b32 s40, -1
	s_mov_b32 s39, 0
	s_mov_b32 s0, s36
	s_branch .LBB9_370
.LBB9_329:
	s_mov_b32 s23, -1
	s_mov_b32 s22, 0
	s_mov_b32 s1, s37
                                        ; implicit-def: $vgpr3_vgpr4
	s_branch .LBB9_456
.LBB9_330:
	s_mov_b32 s40, -1
	s_mov_b32 s39, 0
	s_mov_b32 s0, s36
	s_branch .LBB9_353
.LBB9_331:
	s_andn2_saveexec_b32 s40, s40
	s_cbranch_execz .LBB9_80
.LBB9_332:
	v_add_f32_e64 v3, 0x46000000, |v2|
	s_andn2_b32 s37, s37, exec_lo
	v_and_b32_e32 v3, 0xff, v3
	v_cmp_ne_u32_e32 vcc_lo, 0, v3
	s_and_b32 s41, vcc_lo, exec_lo
	s_or_b32 s37, s37, s41
	s_or_b32 exec_lo, exec_lo, s40
	v_mov_b32_e32 v6, 0
	s_and_saveexec_b32 s40, s37
	s_cbranch_execnz .LBB9_81
	s_branch .LBB9_82
.LBB9_333:
	s_mov_b32 s23, -1
	s_mov_b32 s22, 0
	s_mov_b32 s1, s37
	s_branch .LBB9_338
.LBB9_334:
	s_mov_b32 s40, -1
	s_mov_b32 s39, 0
	s_mov_b32 s0, s36
	s_branch .LBB9_349
.LBB9_335:
	s_andn2_saveexec_b32 s40, s40
	s_cbranch_execz .LBB9_93
.LBB9_336:
	v_add_f32_e64 v3, 0x42800000, |v2|
	s_andn2_b32 s37, s37, exec_lo
	v_and_b32_e32 v3, 0xff, v3
	v_cmp_ne_u32_e32 vcc_lo, 0, v3
	s_and_b32 s41, vcc_lo, exec_lo
	s_or_b32 s37, s37, s41
	s_or_b32 exec_lo, exec_lo, s40
	v_mov_b32_e32 v6, 0
	s_and_saveexec_b32 s40, s37
	s_cbranch_execnz .LBB9_94
	s_branch .LBB9_95
.LBB9_337:
	s_mov_b32 s1, -1
	s_mov_b32 s22, 0
.LBB9_338:
                                        ; implicit-def: $vgpr3_vgpr4
.LBB9_339:
	s_and_b32 vcc_lo, exec_lo, s23
	s_cbranch_vccz .LBB9_455
; %bb.340:
	s_cmp_eq_u32 s0, 44
	s_cbranch_scc0 .LBB9_454
; %bb.341:
	global_load_ubyte v5, v[0:1], off
	s_mov_b32 s1, 0
	s_mov_b32 s22, -1
	s_waitcnt vmcnt(0)
	v_lshlrev_b32_e32 v3, 23, v5
	v_cmp_ne_u32_e32 vcc_lo, 0xff, v5
	v_cvt_f64_f32_e32 v[3:4], v3
	v_cndmask_b32_e32 v3, 0x20000000, v3, vcc_lo
	v_cndmask_b32_e32 v4, 0x7ff80000, v4, vcc_lo
	v_cmp_ne_u32_e32 vcc_lo, 0, v5
	v_cndmask_b32_e32 v4, 0x38000000, v4, vcc_lo
	v_cndmask_b32_e32 v3, 0, v3, vcc_lo
	s_branch .LBB9_455
.LBB9_342:
	s_mov_b32 s40, -1
	s_mov_b32 s39, 0
	s_mov_b32 s0, s36
.LBB9_343:
	s_and_b32 vcc_lo, exec_lo, s40
	s_cbranch_vccz .LBB9_348
; %bb.344:
	s_cmp_eq_u32 s23, 44
	s_mov_b32 s0, -1
	s_cbranch_scc0 .LBB9_348
; %bb.345:
	v_cvt_f32_f64_e32 v2, v[0:1]
	v_mov_b32_e32 v3, 0xff
	s_mov_b32 s39, exec_lo
	v_bfe_u32 v6, v2, 23, 8
	v_cmpx_ne_u32_e32 0xff, v6
	s_cbranch_execz .LBB9_347
; %bb.346:
	v_and_b32_e32 v3, 0x400000, v2
	v_and_or_b32 v6, 0x3fffff, v2, v6
	v_lshrrev_b32_e32 v2, 23, v2
	v_cmp_ne_u32_e32 vcc_lo, 0, v3
	v_cmp_ne_u32_e64 s0, 0, v6
	s_and_b32 s0, vcc_lo, s0
	v_cndmask_b32_e64 v3, 0, 1, s0
	v_add_nc_u32_e32 v3, v2, v3
.LBB9_347:
	s_or_b32 exec_lo, exec_lo, s39
	s_mov_b32 s39, -1
	s_mov_b32 s0, 0
	global_store_byte v[4:5], v3, off
.LBB9_348:
	s_mov_b32 s40, 0
.LBB9_349:
	s_and_b32 vcc_lo, exec_lo, s40
	s_cbranch_vccz .LBB9_352
; %bb.350:
	s_cmp_eq_u32 s23, 29
	s_mov_b32 s0, -1
	s_cbranch_scc0 .LBB9_352
; %bb.351:
	v_trunc_f64_e32 v[2:3], v[0:1]
	s_mov_b32 s39, -1
	s_mov_b32 s0, 0
	s_mov_b32 s40, 0
	v_ldexp_f64 v[6:7], v[2:3], 0xffffffe0
	v_floor_f64_e32 v[6:7], v[6:7]
	v_fma_f64 v[2:3], 0xc1f00000, v[6:7], v[2:3]
	v_cvt_u32_f64_e32 v7, v[6:7]
	v_cvt_u32_f64_e32 v6, v[2:3]
	global_store_dwordx2 v[4:5], v[6:7], off
	s_branch .LBB9_353
.LBB9_352:
	s_mov_b32 s40, 0
.LBB9_353:
	s_and_b32 vcc_lo, exec_lo, s40
	s_cbranch_vccz .LBB9_369
; %bb.354:
	s_cmp_lt_i32 s23, 27
	s_mov_b32 s39, -1
	s_cbranch_scc1 .LBB9_360
; %bb.355:
	v_cvt_u32_f64_e32 v2, v[0:1]
	s_cmp_gt_i32 s23, 27
	s_cbranch_scc0 .LBB9_357
; %bb.356:
	s_mov_b32 s39, 0
	global_store_dword v[4:5], v2, off
.LBB9_357:
	s_andn2_b32 vcc_lo, exec_lo, s39
	s_cbranch_vccnz .LBB9_359
; %bb.358:
	global_store_short v[4:5], v2, off
.LBB9_359:
	s_mov_b32 s39, 0
.LBB9_360:
	s_andn2_b32 vcc_lo, exec_lo, s39
	s_cbranch_vccnz .LBB9_368
; %bb.361:
	v_cvt_f32_f64_e32 v2, v[0:1]
	v_mov_b32_e32 v6, 0x80
	s_mov_b32 s39, exec_lo
	v_and_b32_e32 v3, 0x7fffffff, v2
	v_cmpx_gt_u32_e32 0x43800000, v3
	s_cbranch_execz .LBB9_367
; %bb.362:
	v_cmp_lt_u32_e32 vcc_lo, 0x3bffffff, v3
	s_mov_b32 s40, 0
                                        ; implicit-def: $vgpr3
	s_and_saveexec_b32 s42, vcc_lo
	s_xor_b32 s42, exec_lo, s42
	s_cbranch_execz .LBB9_595
; %bb.363:
	v_bfe_u32 v3, v2, 20, 1
	s_mov_b32 s40, exec_lo
	v_add3_u32 v3, v2, v3, 0x487ffff
	v_lshrrev_b32_e32 v3, 20, v3
	s_andn2_saveexec_b32 s42, s42
	s_cbranch_execnz .LBB9_596
.LBB9_364:
	s_or_b32 exec_lo, exec_lo, s42
	v_mov_b32_e32 v6, 0
	s_and_saveexec_b32 s42, s40
.LBB9_365:
	v_lshrrev_b32_e32 v2, 24, v2
	v_and_or_b32 v6, 0x80, v2, v3
.LBB9_366:
	s_or_b32 exec_lo, exec_lo, s42
.LBB9_367:
	s_or_b32 exec_lo, exec_lo, s39
	global_store_byte v[4:5], v6, off
.LBB9_368:
	s_mov_b32 s39, -1
.LBB9_369:
	s_mov_b32 s40, 0
.LBB9_370:
	s_and_b32 vcc_lo, exec_lo, s40
	s_cbranch_vccz .LBB9_411
; %bb.371:
	s_cmp_gt_i32 s23, 22
	s_mov_b32 s40, -1
	s_cbranch_scc0 .LBB9_403
; %bb.372:
	s_cmp_lt_i32 s23, 24
	s_mov_b32 s39, -1
	s_cbranch_scc1 .LBB9_392
; %bb.373:
	s_cmp_gt_i32 s23, 24
	s_cbranch_scc0 .LBB9_381
; %bb.374:
	v_cvt_f32_f64_e32 v2, v[0:1]
	v_mov_b32_e32 v6, 0x80
	s_mov_b32 s39, exec_lo
	v_and_b32_e32 v3, 0x7fffffff, v2
	v_cmpx_gt_u32_e32 0x47800000, v3
	s_cbranch_execz .LBB9_380
; %bb.375:
	v_cmp_lt_u32_e32 vcc_lo, 0x37ffffff, v3
	s_mov_b32 s40, 0
                                        ; implicit-def: $vgpr3
	s_and_saveexec_b32 s42, vcc_lo
	s_xor_b32 s42, exec_lo, s42
	s_cbranch_execz .LBB9_598
; %bb.376:
	v_bfe_u32 v3, v2, 21, 1
	s_mov_b32 s40, exec_lo
	v_add3_u32 v3, v2, v3, 0x88fffff
	v_lshrrev_b32_e32 v3, 21, v3
	s_andn2_saveexec_b32 s42, s42
	s_cbranch_execnz .LBB9_599
.LBB9_377:
	s_or_b32 exec_lo, exec_lo, s42
	v_mov_b32_e32 v6, 0
	s_and_saveexec_b32 s42, s40
.LBB9_378:
	v_lshrrev_b32_e32 v2, 24, v2
	v_and_or_b32 v6, 0x80, v2, v3
.LBB9_379:
	s_or_b32 exec_lo, exec_lo, s42
.LBB9_380:
	s_or_b32 exec_lo, exec_lo, s39
	s_mov_b32 s39, 0
	global_store_byte v[4:5], v6, off
.LBB9_381:
	s_and_b32 vcc_lo, exec_lo, s39
	s_cbranch_vccz .LBB9_391
; %bb.382:
	v_cvt_f32_f64_e32 v2, v[0:1]
	s_mov_b32 s39, exec_lo
                                        ; implicit-def: $vgpr3
	v_and_b32_e32 v6, 0x7fffffff, v2
	v_cmpx_gt_u32_e32 0x43f00000, v6
	s_xor_b32 s39, exec_lo, s39
	s_cbranch_execz .LBB9_388
; %bb.383:
	s_mov_b32 s40, exec_lo
                                        ; implicit-def: $vgpr3
	v_cmpx_lt_u32_e32 0x3c7fffff, v6
	s_xor_b32 s40, exec_lo, s40
; %bb.384:
	v_bfe_u32 v3, v2, 20, 1
	v_add3_u32 v3, v2, v3, 0x407ffff
	v_and_b32_e32 v6, 0xff00000, v3
	v_lshrrev_b32_e32 v3, 20, v3
	v_cmp_ne_u32_e32 vcc_lo, 0x7f00000, v6
	v_cndmask_b32_e32 v3, 0x7e, v3, vcc_lo
; %bb.385:
	s_andn2_saveexec_b32 s40, s40
; %bb.386:
	v_add_f32_e64 v3, 0x46800000, |v2|
; %bb.387:
	s_or_b32 exec_lo, exec_lo, s40
                                        ; implicit-def: $vgpr6
.LBB9_388:
	s_andn2_saveexec_b32 s39, s39
; %bb.389:
	v_mov_b32_e32 v3, 0x7f
	v_cmp_lt_u32_e32 vcc_lo, 0x7f800000, v6
	v_cndmask_b32_e32 v3, 0x7e, v3, vcc_lo
; %bb.390:
	s_or_b32 exec_lo, exec_lo, s39
	v_lshrrev_b32_e32 v2, 24, v2
	v_and_or_b32 v2, 0x80, v2, v3
	global_store_byte v[4:5], v2, off
.LBB9_391:
	s_mov_b32 s39, 0
.LBB9_392:
	s_andn2_b32 vcc_lo, exec_lo, s39
	s_cbranch_vccnz .LBB9_402
; %bb.393:
	v_cvt_f32_f64_e32 v2, v[0:1]
	s_mov_b32 s39, exec_lo
                                        ; implicit-def: $vgpr3
	v_and_b32_e32 v6, 0x7fffffff, v2
	v_cmpx_gt_u32_e32 0x47800000, v6
	s_xor_b32 s39, exec_lo, s39
	s_cbranch_execz .LBB9_399
; %bb.394:
	s_mov_b32 s40, exec_lo
                                        ; implicit-def: $vgpr3
	v_cmpx_lt_u32_e32 0x387fffff, v6
	s_xor_b32 s40, exec_lo, s40
; %bb.395:
	v_bfe_u32 v3, v2, 21, 1
	v_add3_u32 v3, v2, v3, 0x80fffff
	v_lshrrev_b32_e32 v3, 21, v3
; %bb.396:
	s_andn2_saveexec_b32 s40, s40
; %bb.397:
	v_add_f32_e64 v3, 0x43000000, |v2|
; %bb.398:
	s_or_b32 exec_lo, exec_lo, s40
                                        ; implicit-def: $vgpr6
.LBB9_399:
	s_andn2_saveexec_b32 s39, s39
; %bb.400:
	v_mov_b32_e32 v3, 0x7f
	v_cmp_lt_u32_e32 vcc_lo, 0x7f800000, v6
	v_cndmask_b32_e32 v3, 0x7c, v3, vcc_lo
; %bb.401:
	s_or_b32 exec_lo, exec_lo, s39
	v_lshrrev_b32_e32 v2, 24, v2
	v_and_or_b32 v2, 0x80, v2, v3
	global_store_byte v[4:5], v2, off
.LBB9_402:
	s_mov_b32 s40, 0
	s_mov_b32 s39, -1
.LBB9_403:
	s_andn2_b32 vcc_lo, exec_lo, s40
	s_cbranch_vccnz .LBB9_411
; %bb.404:
	s_cmp_gt_i32 s23, 14
	s_mov_b32 s40, -1
	s_cbranch_scc0 .LBB9_408
; %bb.405:
	s_cmp_eq_u32 s23, 15
	s_mov_b32 s0, -1
	s_cbranch_scc0 .LBB9_407
; %bb.406:
	v_cvt_f32_f64_e32 v2, v[0:1]
	s_mov_b32 s39, -1
	s_mov_b32 s0, 0
	v_bfe_u32 v3, v2, 16, 1
	v_cmp_o_f32_e32 vcc_lo, v2, v2
	v_add3_u32 v2, v2, v3, 0x7fff
	v_mov_b32_e32 v3, 0x7fc0
	v_cndmask_b32_sdwa v2, v3, v2, vcc_lo dst_sel:DWORD dst_unused:UNUSED_PAD src0_sel:DWORD src1_sel:WORD_1
	global_store_short v[4:5], v2, off
.LBB9_407:
	s_mov_b32 s40, 0
.LBB9_408:
	s_and_b32 vcc_lo, exec_lo, s40
	s_cbranch_vccz .LBB9_411
; %bb.409:
	s_cmp_eq_u32 s23, 11
	s_mov_b32 s0, -1
	s_cbranch_scc0 .LBB9_411
; %bb.410:
	v_cmp_neq_f64_e32 vcc_lo, 0, v[0:1]
	s_mov_b32 s39, -1
	s_mov_b32 s0, 0
	v_cndmask_b32_e64 v2, 0, 1, vcc_lo
	global_store_byte v[4:5], v2, off
.LBB9_411:
	s_mov_b32 s23, 0
.LBB9_412:
	s_and_b32 vcc_lo, exec_lo, s23
	s_cbranch_vccz .LBB9_451
; %bb.413:
	s_and_b32 s22, 0xffff, s22
	s_mov_b32 s23, -1
	s_cmp_lt_i32 s22, 5
	s_cbranch_scc1 .LBB9_434
; %bb.414:
	s_cmp_lt_i32 s22, 8
	s_cbranch_scc1 .LBB9_424
; %bb.415:
	;; [unrolled: 3-line block ×3, first 2 shown]
	s_cmp_gt_i32 s22, 9
	s_cbranch_scc0 .LBB9_418
; %bb.417:
	v_mov_b32_e32 v2, 0
	s_mov_b32 s23, 0
	v_mov_b32_e32 v3, v2
	global_store_dwordx4 v[4:5], v[0:3], off
.LBB9_418:
	s_andn2_b32 vcc_lo, exec_lo, s23
	s_cbranch_vccnz .LBB9_420
; %bb.419:
	v_cvt_f32_f64_e32 v2, v[0:1]
	v_mov_b32_e32 v3, 0
	global_store_dwordx2 v[4:5], v[2:3], off
.LBB9_420:
	s_mov_b32 s23, 0
.LBB9_421:
	s_andn2_b32 vcc_lo, exec_lo, s23
	s_cbranch_vccnz .LBB9_423
; %bb.422:
	v_and_or_b32 v2, 0x1ff, v1, v0
	v_lshrrev_b32_e32 v3, 8, v1
	v_bfe_u32 v6, v1, 20, 11
	v_cmp_ne_u32_e32 vcc_lo, 0, v2
	v_sub_nc_u32_e32 v7, 0x3f1, v6
	v_add_nc_u32_e32 v6, 0xfffffc10, v6
	v_cndmask_b32_e64 v2, 0, 1, vcc_lo
	v_and_or_b32 v2, 0xffe, v3, v2
	v_med3_i32 v3, v7, 0, 13
	v_or_b32_e32 v7, 0x1000, v2
	v_lshrrev_b32_e32 v8, v3, v7
	v_lshlrev_b32_e32 v3, v3, v8
	v_cmp_ne_u32_e32 vcc_lo, v3, v7
	v_lshl_or_b32 v7, v6, 12, v2
	v_cndmask_b32_e64 v3, 0, 1, vcc_lo
	v_cmp_gt_i32_e32 vcc_lo, 1, v6
	v_or_b32_e32 v3, v8, v3
	v_cndmask_b32_e32 v3, v7, v3, vcc_lo
	v_and_b32_e32 v7, 7, v3
	v_lshrrev_b32_e32 v3, 2, v3
	v_cmp_lt_i32_e32 vcc_lo, 5, v7
	v_cndmask_b32_e64 v8, 0, 1, vcc_lo
	v_cmp_eq_u32_e32 vcc_lo, 3, v7
	v_cndmask_b32_e64 v7, 0, 1, vcc_lo
	v_cmp_ne_u32_e32 vcc_lo, 0, v2
	v_or_b32_e32 v7, v7, v8
	v_mov_b32_e32 v8, 0x7e00
	v_add_nc_u32_e32 v3, v3, v7
	v_cndmask_b32_e32 v2, 0x7c00, v8, vcc_lo
	v_cmp_gt_i32_e32 vcc_lo, 31, v6
	v_cndmask_b32_e32 v3, 0x7c00, v3, vcc_lo
	v_cmp_eq_u32_e32 vcc_lo, 0x40f, v6
	v_cndmask_b32_e32 v2, v3, v2, vcc_lo
	v_lshrrev_b32_e32 v3, 16, v1
	v_and_or_b32 v2, 0x8000, v3, v2
	v_and_b32_e32 v2, 0xffff, v2
	global_store_dword v[4:5], v2, off
.LBB9_423:
	s_mov_b32 s23, 0
.LBB9_424:
	s_andn2_b32 vcc_lo, exec_lo, s23
	s_cbranch_vccnz .LBB9_433
; %bb.425:
	s_cmp_lt_i32 s22, 6
	s_mov_b32 s23, -1
	s_cbranch_scc1 .LBB9_431
; %bb.426:
	s_cmp_gt_i32 s22, 6
	s_cbranch_scc0 .LBB9_428
; %bb.427:
	s_mov_b32 s23, 0
	global_store_dwordx2 v[4:5], v[0:1], off
.LBB9_428:
	s_andn2_b32 vcc_lo, exec_lo, s23
	s_cbranch_vccnz .LBB9_430
; %bb.429:
	v_cvt_f32_f64_e32 v2, v[0:1]
	global_store_dword v[4:5], v2, off
.LBB9_430:
	s_mov_b32 s23, 0
.LBB9_431:
	s_andn2_b32 vcc_lo, exec_lo, s23
	s_cbranch_vccnz .LBB9_433
; %bb.432:
	v_and_or_b32 v2, 0x1ff, v1, v0
	v_lshrrev_b32_e32 v3, 8, v1
	v_bfe_u32 v6, v1, 20, 11
	v_cmp_ne_u32_e32 vcc_lo, 0, v2
	v_sub_nc_u32_e32 v7, 0x3f1, v6
	v_add_nc_u32_e32 v6, 0xfffffc10, v6
	v_cndmask_b32_e64 v2, 0, 1, vcc_lo
	v_and_or_b32 v2, 0xffe, v3, v2
	v_med3_i32 v3, v7, 0, 13
	v_or_b32_e32 v7, 0x1000, v2
	v_lshrrev_b32_e32 v8, v3, v7
	v_lshlrev_b32_e32 v3, v3, v8
	v_cmp_ne_u32_e32 vcc_lo, v3, v7
	v_lshl_or_b32 v7, v6, 12, v2
	v_cndmask_b32_e64 v3, 0, 1, vcc_lo
	v_cmp_gt_i32_e32 vcc_lo, 1, v6
	v_or_b32_e32 v3, v8, v3
	v_cndmask_b32_e32 v3, v7, v3, vcc_lo
	v_and_b32_e32 v7, 7, v3
	v_lshrrev_b32_e32 v3, 2, v3
	v_cmp_lt_i32_e32 vcc_lo, 5, v7
	v_cndmask_b32_e64 v8, 0, 1, vcc_lo
	v_cmp_eq_u32_e32 vcc_lo, 3, v7
	v_cndmask_b32_e64 v7, 0, 1, vcc_lo
	v_cmp_ne_u32_e32 vcc_lo, 0, v2
	v_or_b32_e32 v7, v7, v8
	v_mov_b32_e32 v8, 0x7e00
	v_add_nc_u32_e32 v3, v3, v7
	v_cndmask_b32_e32 v2, 0x7c00, v8, vcc_lo
	v_cmp_gt_i32_e32 vcc_lo, 31, v6
	v_cndmask_b32_e32 v3, 0x7c00, v3, vcc_lo
	v_cmp_eq_u32_e32 vcc_lo, 0x40f, v6
	v_cndmask_b32_e32 v2, v3, v2, vcc_lo
	v_lshrrev_b32_e32 v3, 16, v1
	v_and_or_b32 v2, 0x8000, v3, v2
	global_store_short v[4:5], v2, off
.LBB9_433:
	s_mov_b32 s23, 0
.LBB9_434:
	s_andn2_b32 vcc_lo, exec_lo, s23
	s_cbranch_vccnz .LBB9_450
; %bb.435:
	s_cmp_lt_i32 s22, 2
	s_mov_b32 s23, -1
	s_cbranch_scc1 .LBB9_445
; %bb.436:
	s_cmp_lt_i32 s22, 3
	s_cbranch_scc1 .LBB9_442
; %bb.437:
	s_cmp_gt_i32 s22, 3
	s_cbranch_scc0 .LBB9_439
; %bb.438:
	v_trunc_f64_e32 v[2:3], v[0:1]
	s_mov_b32 s23, 0
	v_ldexp_f64 v[6:7], v[2:3], 0xffffffe0
	v_floor_f64_e32 v[6:7], v[6:7]
	v_fma_f64 v[2:3], 0xc1f00000, v[6:7], v[2:3]
	v_cvt_i32_f64_e32 v7, v[6:7]
	v_cvt_u32_f64_e32 v6, v[2:3]
	global_store_dwordx2 v[4:5], v[6:7], off
.LBB9_439:
	s_andn2_b32 vcc_lo, exec_lo, s23
	s_cbranch_vccnz .LBB9_441
; %bb.440:
	v_cvt_i32_f64_e32 v2, v[0:1]
	global_store_dword v[4:5], v2, off
.LBB9_441:
	s_mov_b32 s23, 0
.LBB9_442:
	s_andn2_b32 vcc_lo, exec_lo, s23
	s_cbranch_vccnz .LBB9_444
; %bb.443:
	v_cvt_i32_f64_e32 v2, v[0:1]
	global_store_short v[4:5], v2, off
.LBB9_444:
	s_mov_b32 s23, 0
.LBB9_445:
	s_andn2_b32 vcc_lo, exec_lo, s23
	s_cbranch_vccnz .LBB9_450
; %bb.446:
	s_cmp_gt_i32 s22, 0
	s_mov_b32 s22, -1
	s_cbranch_scc0 .LBB9_448
; %bb.447:
	v_cvt_i32_f64_e32 v2, v[0:1]
	s_mov_b32 s22, 0
	global_store_byte v[4:5], v2, off
.LBB9_448:
	s_andn2_b32 vcc_lo, exec_lo, s22
	s_cbranch_vccnz .LBB9_450
; %bb.449:
	v_trunc_f64_e32 v[0:1], v[0:1]
	v_ldexp_f64 v[2:3], v[0:1], 0xffffffe0
	v_floor_f64_e32 v[2:3], v[2:3]
	v_fma_f64 v[0:1], 0xc1f00000, v[2:3], v[0:1]
	v_cvt_u32_f64_e32 v0, v[0:1]
	global_store_byte v[4:5], v0, off
.LBB9_450:
	s_mov_b32 s39, -1
.LBB9_451:
	s_andn2_b32 vcc_lo, exec_lo, s39
	s_cbranch_vccnz .LBB9_453
; %bb.452:
	v_add_nc_u32_e32 v11, 0x80, v11
	s_mov_b32 s22, -1
	s_branch .LBB9_566
.LBB9_453:
	s_mov_b32 s22, 0
	s_branch .LBB9_565
.LBB9_454:
	s_mov_b32 s1, -1
                                        ; implicit-def: $vgpr3_vgpr4
.LBB9_455:
	s_mov_b32 s23, 0
.LBB9_456:
	s_and_b32 vcc_lo, exec_lo, s23
	s_cbranch_vccz .LBB9_460
; %bb.457:
	s_cmp_eq_u32 s0, 29
	s_cbranch_scc0 .LBB9_459
; %bb.458:
	global_load_dwordx2 v[3:4], v[0:1], off
	s_mov_b32 s22, -1
	s_mov_b32 s1, 0
	s_mov_b32 s23, 0
	s_waitcnt vmcnt(0)
	v_cvt_f64_u32_e32 v[4:5], v4
	v_cvt_f64_u32_e32 v[6:7], v3
	v_ldexp_f64 v[4:5], v[4:5], 32
	v_add_f64 v[3:4], v[4:5], v[6:7]
	s_branch .LBB9_461
.LBB9_459:
	s_mov_b32 s1, -1
                                        ; implicit-def: $vgpr3_vgpr4
.LBB9_460:
	s_mov_b32 s23, 0
.LBB9_461:
	s_and_b32 vcc_lo, exec_lo, s23
	s_cbranch_vccz .LBB9_481
; %bb.462:
	s_cmp_lt_i32 s0, 27
	s_cbranch_scc1 .LBB9_465
; %bb.463:
	s_cmp_gt_i32 s0, 27
	s_cbranch_scc0 .LBB9_466
; %bb.464:
	global_load_dword v3, v[0:1], off
	s_mov_b32 s22, 0
	s_waitcnt vmcnt(0)
	v_cvt_f64_u32_e32 v[3:4], v3
	s_branch .LBB9_467
.LBB9_465:
	s_mov_b32 s22, -1
                                        ; implicit-def: $vgpr3_vgpr4
	s_branch .LBB9_470
.LBB9_466:
	s_mov_b32 s22, -1
                                        ; implicit-def: $vgpr3_vgpr4
.LBB9_467:
	s_andn2_b32 vcc_lo, exec_lo, s22
	s_cbranch_vccnz .LBB9_469
; %bb.468:
	global_load_ushort v3, v[0:1], off
	s_waitcnt vmcnt(0)
	v_cvt_f64_u32_e32 v[3:4], v3
.LBB9_469:
	s_mov_b32 s22, 0
.LBB9_470:
	s_andn2_b32 vcc_lo, exec_lo, s22
	s_cbranch_vccnz .LBB9_480
; %bb.471:
	global_load_ubyte v5, v[0:1], off
	s_mov_b32 s22, 0
	s_mov_b32 s23, exec_lo
	s_waitcnt vmcnt(0)
	v_cmpx_lt_i16_e32 0x7f, v5
	s_xor_b32 s23, exec_lo, s23
	s_cbranch_execz .LBB9_475
; %bb.472:
	s_mov_b32 s22, -1
	s_mov_b32 s39, exec_lo
	v_cmpx_eq_u16_e32 0x80, v5
; %bb.473:
	s_xor_b32 s22, exec_lo, -1
; %bb.474:
	s_or_b32 exec_lo, exec_lo, s39
	s_and_b32 s22, s22, exec_lo
.LBB9_475:
	s_or_saveexec_b32 s23, s23
	v_bfrev_b32_e32 v3, 4
	v_mov_b32_e32 v4, 0x7ff80000
	s_xor_b32 exec_lo, exec_lo, s23
; %bb.476:
	v_cmp_ne_u16_e32 vcc_lo, 0, v5
	v_mov_b32_e32 v3, 0
	v_mov_b32_e32 v4, 0
	s_andn2_b32 s22, s22, exec_lo
	s_and_b32 s39, vcc_lo, exec_lo
	s_or_b32 s22, s22, s39
; %bb.477:
	s_or_b32 exec_lo, exec_lo, s23
	s_and_saveexec_b32 s23, s22
	s_cbranch_execz .LBB9_479
; %bb.478:
	v_and_b32_e32 v3, 0xffff, v5
	v_lshlrev_b32_e32 v5, 24, v5
	v_and_b32_e32 v4, 7, v3
	v_bfe_u32 v8, v3, 3, 4
	v_ffbh_u32_e32 v6, v4
	v_cmp_eq_u32_e32 vcc_lo, 0, v8
	v_min_u32_e32 v6, 32, v6
	v_subrev_nc_u32_e32 v7, 28, v6
	v_sub_nc_u32_e32 v6, 29, v6
	v_lshlrev_b32_e32 v3, v7, v3
	v_cndmask_b32_e32 v6, v8, v6, vcc_lo
	v_and_b32_e32 v3, 7, v3
	v_cndmask_b32_e32 v3, v4, v3, vcc_lo
	v_and_b32_e32 v4, 0x80000000, v5
	v_lshl_add_u32 v5, v6, 23, 0x3b800000
	v_lshlrev_b32_e32 v3, 20, v3
	v_or3_b32 v3, v4, v5, v3
	v_cvt_f64_f32_e32 v[3:4], v3
.LBB9_479:
	s_or_b32 exec_lo, exec_lo, s23
.LBB9_480:
	s_mov_b32 s22, -1
.LBB9_481:
	s_mov_b32 s23, 0
.LBB9_482:
	s_and_b32 vcc_lo, exec_lo, s23
	s_cbranch_vccz .LBB9_515
; %bb.483:
	s_cmp_gt_i32 s0, 22
	s_cbranch_scc0 .LBB9_495
; %bb.484:
	s_cmp_lt_i32 s0, 24
	s_cbranch_scc1 .LBB9_496
; %bb.485:
	s_cmp_gt_i32 s0, 24
	s_cbranch_scc0 .LBB9_497
; %bb.486:
	global_load_ubyte v5, v[0:1], off
	s_mov_b32 s22, 0
	s_mov_b32 s23, exec_lo
	s_waitcnt vmcnt(0)
	v_cmpx_lt_i16_e32 0x7f, v5
	s_xor_b32 s23, exec_lo, s23
	s_cbranch_execz .LBB9_490
; %bb.487:
	s_mov_b32 s22, -1
	s_mov_b32 s39, exec_lo
	v_cmpx_eq_u16_e32 0x80, v5
; %bb.488:
	s_xor_b32 s22, exec_lo, -1
; %bb.489:
	s_or_b32 exec_lo, exec_lo, s39
	s_and_b32 s22, s22, exec_lo
.LBB9_490:
	s_or_saveexec_b32 s23, s23
	v_bfrev_b32_e32 v3, 4
	v_mov_b32_e32 v4, 0x7ff80000
	s_xor_b32 exec_lo, exec_lo, s23
; %bb.491:
	v_cmp_ne_u16_e32 vcc_lo, 0, v5
	v_mov_b32_e32 v3, 0
	v_mov_b32_e32 v4, 0
	s_andn2_b32 s22, s22, exec_lo
	s_and_b32 s39, vcc_lo, exec_lo
	s_or_b32 s22, s22, s39
; %bb.492:
	s_or_b32 exec_lo, exec_lo, s23
	s_and_saveexec_b32 s23, s22
	s_cbranch_execz .LBB9_494
; %bb.493:
	v_and_b32_e32 v3, 0xffff, v5
	v_lshlrev_b32_e32 v5, 24, v5
	v_and_b32_e32 v4, 3, v3
	v_bfe_u32 v8, v3, 2, 5
	v_ffbh_u32_e32 v6, v4
	v_cmp_eq_u32_e32 vcc_lo, 0, v8
	v_min_u32_e32 v6, 32, v6
	v_subrev_nc_u32_e32 v7, 29, v6
	v_sub_nc_u32_e32 v6, 30, v6
	v_lshlrev_b32_e32 v3, v7, v3
	v_cndmask_b32_e32 v6, v8, v6, vcc_lo
	v_and_b32_e32 v3, 3, v3
	v_cndmask_b32_e32 v3, v4, v3, vcc_lo
	v_and_b32_e32 v4, 0x80000000, v5
	v_lshl_add_u32 v5, v6, 23, 0x37800000
	v_lshlrev_b32_e32 v3, 21, v3
	v_or3_b32 v3, v4, v5, v3
	v_cvt_f64_f32_e32 v[3:4], v3
.LBB9_494:
	s_or_b32 exec_lo, exec_lo, s23
	s_mov_b32 s22, 0
	s_branch .LBB9_498
.LBB9_495:
	s_mov_b32 s23, -1
                                        ; implicit-def: $vgpr3_vgpr4
	s_branch .LBB9_504
.LBB9_496:
	s_mov_b32 s22, -1
                                        ; implicit-def: $vgpr3_vgpr4
	s_branch .LBB9_501
.LBB9_497:
	s_mov_b32 s22, -1
                                        ; implicit-def: $vgpr3_vgpr4
.LBB9_498:
	s_and_b32 vcc_lo, exec_lo, s22
	s_cbranch_vccz .LBB9_500
; %bb.499:
	global_load_ubyte v3, v[0:1], off
	s_waitcnt vmcnt(0)
	v_lshlrev_b32_e32 v3, 24, v3
	v_and_b32_e32 v4, 0x7f000000, v3
	v_ffbh_u32_e32 v5, v4
	v_add_nc_u32_e32 v7, 0x1000000, v4
	v_cmp_ne_u32_e32 vcc_lo, 0, v4
	v_min_u32_e32 v5, 32, v5
	v_sub_nc_u32_e64 v5, v5, 4 clamp
	v_lshlrev_b32_e32 v6, v5, v4
	v_lshlrev_b32_e32 v5, 23, v5
	v_lshrrev_b32_e32 v6, 4, v6
	v_sub_nc_u32_e32 v5, v6, v5
	v_ashrrev_i32_e32 v6, 8, v7
	v_add_nc_u32_e32 v5, 0x3c000000, v5
	v_and_or_b32 v5, 0x7f800000, v6, v5
	v_cndmask_b32_e32 v4, 0, v5, vcc_lo
	v_and_or_b32 v3, 0x80000000, v3, v4
	v_cvt_f64_f32_e32 v[3:4], v3
.LBB9_500:
	s_mov_b32 s22, 0
.LBB9_501:
	s_andn2_b32 vcc_lo, exec_lo, s22
	s_cbranch_vccnz .LBB9_503
; %bb.502:
	global_load_ubyte v3, v[0:1], off
	s_waitcnt vmcnt(0)
	v_lshlrev_b32_e32 v4, 25, v3
	v_lshlrev_b16 v3, 8, v3
	v_lshrrev_b32_e32 v5, 4, v4
	v_and_or_b32 v6, 0x7f00, v3, 0.5
	v_cmp_gt_u32_e32 vcc_lo, 0x8000000, v4
	v_bfe_i32 v3, v3, 0, 16
	v_or_b32_e32 v5, 0x70000000, v5
	v_add_f32_e32 v6, -0.5, v6
	v_mul_f32_e32 v5, 0x7800000, v5
	v_cndmask_b32_e32 v4, v5, v6, vcc_lo
	v_and_or_b32 v3, 0x80000000, v3, v4
	v_cvt_f64_f32_e32 v[3:4], v3
.LBB9_503:
	s_mov_b32 s23, 0
	s_mov_b32 s22, -1
.LBB9_504:
	s_andn2_b32 vcc_lo, exec_lo, s23
	s_cbranch_vccnz .LBB9_515
; %bb.505:
	s_cmp_gt_i32 s0, 14
	s_cbranch_scc0 .LBB9_508
; %bb.506:
	s_cmp_eq_u32 s0, 15
	s_cbranch_scc0 .LBB9_509
; %bb.507:
	global_load_ushort v3, v[0:1], off
	s_mov_b32 s22, -1
	s_mov_b32 s1, 0
	s_waitcnt vmcnt(0)
	v_lshlrev_b32_e32 v3, 16, v3
	v_cvt_f64_f32_e32 v[3:4], v3
	s_branch .LBB9_510
.LBB9_508:
	s_mov_b32 s23, -1
                                        ; implicit-def: $vgpr3_vgpr4
	s_branch .LBB9_511
.LBB9_509:
	s_mov_b32 s1, -1
                                        ; implicit-def: $vgpr3_vgpr4
.LBB9_510:
	s_mov_b32 s23, 0
.LBB9_511:
	s_and_b32 vcc_lo, exec_lo, s23
	s_cbranch_vccz .LBB9_515
; %bb.512:
	s_cmp_eq_u32 s0, 11
	s_cbranch_scc0 .LBB9_514
; %bb.513:
	global_load_ubyte v3, v[0:1], off
	s_mov_b32 s1, 0
	s_mov_b32 s22, -1
	s_waitcnt vmcnt(0)
	v_cmp_ne_u16_e32 vcc_lo, 0, v3
	v_mov_b32_e32 v3, 0
	v_cndmask_b32_e64 v4, 0, 0x3ff00000, vcc_lo
	s_branch .LBB9_515
.LBB9_514:
	s_mov_b32 s1, -1
                                        ; implicit-def: $vgpr3_vgpr4
.LBB9_515:
	s_branch .LBB9_305
.LBB9_516:
	s_cmp_lt_i32 s0, 5
	s_cbranch_scc1 .LBB9_521
; %bb.517:
	s_cmp_lt_i32 s0, 8
	s_cbranch_scc1 .LBB9_522
; %bb.518:
	;; [unrolled: 3-line block ×3, first 2 shown]
	s_cmp_gt_i32 s0, 9
	s_cbranch_scc0 .LBB9_524
; %bb.520:
	global_load_dwordx2 v[3:4], v[0:1], off
	s_mov_b32 s22, 0
	s_branch .LBB9_525
.LBB9_521:
	s_mov_b32 s22, -1
                                        ; implicit-def: $vgpr3_vgpr4
	s_branch .LBB9_543
.LBB9_522:
	s_mov_b32 s22, -1
                                        ; implicit-def: $vgpr3_vgpr4
	s_branch .LBB9_531
.LBB9_523:
	s_mov_b32 s22, -1
                                        ; implicit-def: $vgpr3_vgpr4
	s_branch .LBB9_528
.LBB9_524:
	s_mov_b32 s22, -1
                                        ; implicit-def: $vgpr3_vgpr4
.LBB9_525:
	s_andn2_b32 vcc_lo, exec_lo, s22
	s_cbranch_vccnz .LBB9_527
; %bb.526:
	global_load_dword v3, v[0:1], off
	s_waitcnt vmcnt(0)
	v_cvt_f64_f32_e32 v[3:4], v3
.LBB9_527:
	s_mov_b32 s22, 0
.LBB9_528:
	s_andn2_b32 vcc_lo, exec_lo, s22
	s_cbranch_vccnz .LBB9_530
; %bb.529:
	global_load_dword v3, v[0:1], off
	s_waitcnt vmcnt(0)
	v_cvt_f32_f16_e32 v3, v3
	v_cvt_f64_f32_e32 v[3:4], v3
.LBB9_530:
	s_mov_b32 s22, 0
.LBB9_531:
	s_andn2_b32 vcc_lo, exec_lo, s22
	s_cbranch_vccnz .LBB9_542
; %bb.532:
	s_cmp_lt_i32 s0, 6
	s_cbranch_scc1 .LBB9_535
; %bb.533:
	s_cmp_gt_i32 s0, 6
	s_cbranch_scc0 .LBB9_536
; %bb.534:
	global_load_dwordx2 v[3:4], v[0:1], off
	s_mov_b32 s22, 0
	s_branch .LBB9_537
.LBB9_535:
	s_mov_b32 s22, -1
                                        ; implicit-def: $vgpr3_vgpr4
	s_branch .LBB9_540
.LBB9_536:
	s_mov_b32 s22, -1
                                        ; implicit-def: $vgpr3_vgpr4
.LBB9_537:
	s_andn2_b32 vcc_lo, exec_lo, s22
	s_cbranch_vccnz .LBB9_539
; %bb.538:
	global_load_dword v3, v[0:1], off
	s_waitcnt vmcnt(0)
	v_cvt_f64_f32_e32 v[3:4], v3
.LBB9_539:
	s_mov_b32 s22, 0
.LBB9_540:
	s_andn2_b32 vcc_lo, exec_lo, s22
	s_cbranch_vccnz .LBB9_542
; %bb.541:
	global_load_ushort v3, v[0:1], off
	s_waitcnt vmcnt(0)
	v_cvt_f32_f16_e32 v3, v3
	v_cvt_f64_f32_e32 v[3:4], v3
.LBB9_542:
	s_mov_b32 s22, 0
.LBB9_543:
	s_andn2_b32 vcc_lo, exec_lo, s22
	s_cbranch_vccnz .LBB9_563
; %bb.544:
	s_cmp_lt_i32 s0, 2
	s_cbranch_scc1 .LBB9_548
; %bb.545:
	s_cmp_lt_i32 s0, 3
	s_cbranch_scc1 .LBB9_549
; %bb.546:
	s_cmp_gt_i32 s0, 3
	s_cbranch_scc0 .LBB9_550
; %bb.547:
	global_load_dwordx2 v[3:4], v[0:1], off
	s_mov_b32 s22, 0
	s_waitcnt vmcnt(0)
	v_cvt_f64_i32_e32 v[4:5], v4
	v_cvt_f64_u32_e32 v[6:7], v3
	v_ldexp_f64 v[4:5], v[4:5], 32
	v_add_f64 v[3:4], v[4:5], v[6:7]
	s_branch .LBB9_551
.LBB9_548:
	s_mov_b32 s22, -1
                                        ; implicit-def: $vgpr3_vgpr4
	s_branch .LBB9_557
.LBB9_549:
	s_mov_b32 s22, -1
                                        ; implicit-def: $vgpr3_vgpr4
	s_branch .LBB9_554
.LBB9_550:
	s_mov_b32 s22, -1
                                        ; implicit-def: $vgpr3_vgpr4
.LBB9_551:
	s_andn2_b32 vcc_lo, exec_lo, s22
	s_cbranch_vccnz .LBB9_553
; %bb.552:
	global_load_dword v3, v[0:1], off
	s_waitcnt vmcnt(0)
	v_cvt_f64_i32_e32 v[3:4], v3
.LBB9_553:
	s_mov_b32 s22, 0
.LBB9_554:
	s_andn2_b32 vcc_lo, exec_lo, s22
	s_cbranch_vccnz .LBB9_556
; %bb.555:
	global_load_sshort v3, v[0:1], off
	s_waitcnt vmcnt(0)
	v_cvt_f64_i32_e32 v[3:4], v3
.LBB9_556:
	s_mov_b32 s22, 0
.LBB9_557:
	s_andn2_b32 vcc_lo, exec_lo, s22
	s_cbranch_vccnz .LBB9_563
; %bb.558:
	s_cmp_gt_i32 s0, 0
	s_mov_b32 s0, 0
	s_cbranch_scc0 .LBB9_560
; %bb.559:
	global_load_sbyte v3, v[0:1], off
	s_waitcnt vmcnt(0)
	v_cvt_f64_i32_e32 v[3:4], v3
	s_branch .LBB9_561
.LBB9_560:
	s_mov_b32 s0, -1
                                        ; implicit-def: $vgpr3_vgpr4
.LBB9_561:
	s_andn2_b32 vcc_lo, exec_lo, s0
	s_cbranch_vccnz .LBB9_563
; %bb.562:
	global_load_ubyte v0, v[0:1], off
	s_waitcnt vmcnt(0)
	v_cvt_f64_u32_e32 v[3:4], v0
.LBB9_563:
	s_branch .LBB9_306
.LBB9_564:
	s_mov_b32 s22, 0
	s_mov_b32 s0, s36
.LBB9_565:
                                        ; implicit-def: $vgpr11
.LBB9_566:
	s_andn2_b32 s23, s36, exec_lo
	s_and_b32 s0, s0, exec_lo
	s_andn2_b32 s39, s37, exec_lo
	s_and_b32 s1, s1, exec_lo
	s_or_b32 s40, s23, s0
	s_or_b32 s39, s39, s1
	s_orn2_b32 s0, s22, exec_lo
.LBB9_567:
	s_or_b32 exec_lo, exec_lo, s41
	s_mov_b32 s1, 0
	s_mov_b32 s23, 0
	;; [unrolled: 1-line block ×3, first 2 shown]
                                        ; implicit-def: $vgpr0_vgpr1
                                        ; implicit-def: $vgpr2
                                        ; implicit-def: $vgpr3_vgpr4
	s_and_saveexec_b32 s41, s0
	s_cbranch_execz .LBB9_956
; %bb.568:
	s_mov_b32 s44, -1
	s_mov_b32 s22, s39
	s_mov_b32 s23, s40
	s_mov_b32 s42, exec_lo
	v_cmpx_gt_i32_e64 s33, v11
	s_cbranch_execz .LBB9_855
; %bb.569:
	s_andn2_b32 vcc_lo, exec_lo, s27
	s_cbranch_vccnz .LBB9_574
; %bb.570:
	s_andn2_b32 vcc_lo, exec_lo, s34
	s_cbranch_vccnz .LBB9_575
; %bb.571:
	s_add_i32 s44, s35, 1
	s_cmp_eq_u32 s25, 2
	s_cbranch_scc1 .LBB9_576
; %bb.572:
	v_mov_b32_e32 v0, 0
	v_mov_b32_e32 v2, 0
	;; [unrolled: 1-line block ×3, first 2 shown]
	s_and_b32 s43, s44, 28
	s_mov_b32 s45, 0
	s_mov_b64 s[0:1], s[2:3]
	s_mov_b64 s[22:23], s[20:21]
.LBB9_573:                              ; =>This Inner Loop Header: Depth=1
	s_clause 0x1
	s_load_dwordx8 s[48:55], s[0:1], 0x4
	s_load_dwordx4 s[64:67], s[0:1], 0x24
	s_load_dwordx8 s[56:63], s[22:23], 0x0
	s_add_u32 s0, s0, 48
	s_addc_u32 s1, s1, 0
	s_add_i32 s45, s45, 4
	s_add_u32 s22, s22, 32
	s_addc_u32 s23, s23, 0
	s_cmp_eq_u32 s43, s45
	s_waitcnt vmcnt(0) lgkmcnt(0)
	v_mul_hi_u32 v3, s49, v1
	v_add_nc_u32_e32 v3, v1, v3
	v_lshrrev_b32_e32 v3, s50, v3
	v_mul_hi_u32 v4, s52, v3
	v_mul_lo_u32 v6, v3, s48
	v_add_nc_u32_e32 v4, v3, v4
	v_sub_nc_u32_e32 v1, v1, v6
	v_lshrrev_b32_e32 v4, s53, v4
	v_mul_lo_u32 v6, v1, s56
	v_mul_lo_u32 v8, v1, s57
	v_mul_hi_u32 v5, s55, v4
	v_add_nc_u32_e32 v5, v4, v5
	v_lshrrev_b32_e32 v5, s64, v5
	v_mul_hi_u32 v7, s66, v5
	v_mul_lo_u32 v9, v5, s54
	v_add_nc_u32_e32 v1, v5, v7
	v_mul_lo_u32 v7, v4, s51
	v_sub_nc_u32_e32 v4, v4, v9
	v_lshrrev_b32_e32 v1, s67, v1
	v_mul_lo_u32 v9, v4, s60
	v_mul_lo_u32 v4, v4, s61
	v_sub_nc_u32_e32 v3, v3, v7
	v_mul_lo_u32 v10, v1, s65
	v_mul_lo_u32 v7, v3, s58
	v_mul_lo_u32 v3, v3, s59
	v_sub_nc_u32_e32 v5, v5, v10
	v_add3_u32 v2, v6, v2, v7
	v_mul_lo_u32 v10, v5, s62
	v_mul_lo_u32 v5, v5, s63
	v_add3_u32 v0, v8, v0, v3
	v_add3_u32 v2, v9, v2, v10
	;; [unrolled: 1-line block ×3, first 2 shown]
	s_cbranch_scc0 .LBB9_573
	s_branch .LBB9_577
.LBB9_574:
	s_mov_b32 s0, -1
                                        ; implicit-def: $vgpr2
                                        ; implicit-def: $vgpr0
	s_branch .LBB9_581
.LBB9_575:
	v_mov_b32_e32 v2, 0
	v_mov_b32_e32 v0, 0
	s_branch .LBB9_580
.LBB9_576:
	v_mov_b32_e32 v2, 0
	v_mov_b32_e32 v0, 0
	;; [unrolled: 1-line block ×3, first 2 shown]
	s_mov_b32 s43, 0
.LBB9_577:
	s_and_b32 s44, s44, 3
	s_cmp_eq_u32 s44, 0
	s_cbranch_scc1 .LBB9_580
; %bb.578:
	s_lshl_b32 s0, s43, 3
	s_mul_i32 s22, s43, 12
	s_add_u32 s0, s2, s0
	s_addc_u32 s1, s3, 0
	s_add_u32 s0, s0, 0xc4
	s_addc_u32 s1, s1, 0
	;; [unrolled: 2-line block ×3, first 2 shown]
	.p2align	6
.LBB9_579:                              ; =>This Inner Loop Header: Depth=1
	s_clause 0x1
	s_load_dwordx2 s[46:47], s[22:23], 0x4
	s_load_dword s43, s[22:23], 0xc
	s_load_dwordx2 s[48:49], s[0:1], 0x0
	s_add_u32 s22, s22, 12
	s_addc_u32 s23, s23, 0
	s_add_u32 s0, s0, 8
	s_addc_u32 s1, s1, 0
	s_add_i32 s44, s44, -1
	s_cmp_lg_u32 s44, 0
	s_waitcnt vmcnt(0) lgkmcnt(0)
	v_mul_hi_u32 v3, s47, v1
	v_add_nc_u32_e32 v3, v1, v3
	v_lshrrev_b32_e32 v4, s43, v3
	v_mul_lo_u32 v3, v4, s46
	v_sub_nc_u32_e32 v1, v1, v3
	v_mad_u64_u32 v[2:3], null, v1, s48, v[2:3]
	v_mad_u64_u32 v[0:1], null, v1, s49, v[0:1]
	v_mov_b32_e32 v1, v4
	s_cbranch_scc1 .LBB9_579
.LBB9_580:
	s_mov_b32 s0, 0
.LBB9_581:
	s_andn2_b32 vcc_lo, exec_lo, s0
	s_cbranch_vccnz .LBB9_584
; %bb.582:
	s_waitcnt lgkmcnt(0)
	v_mul_hi_u32 v0, s17, v11
	s_andn2_b32 vcc_lo, exec_lo, s31
	v_add_nc_u32_e32 v0, v11, v0
	v_lshrrev_b32_e32 v1, s18, v0
	v_mul_lo_u32 v0, v1, s16
	v_sub_nc_u32_e32 v0, v11, v0
	v_mul_lo_u32 v2, v0, s12
	v_mul_lo_u32 v0, v0, s13
	s_cbranch_vccnz .LBB9_584
; %bb.583:
	s_waitcnt vmcnt(0)
	v_mul_hi_u32 v3, s6, v1
	v_add_nc_u32_e32 v3, v1, v3
	v_lshrrev_b32_e32 v3, s7, v3
	v_mul_lo_u32 v3, v3, s19
	v_sub_nc_u32_e32 v1, v1, v3
	v_mad_u64_u32 v[2:3], null, v1, s14, v[2:3]
	v_mad_u64_u32 v[0:1], null, v1, s15, v[0:1]
.LBB9_584:
	s_waitcnt lgkmcnt(0)
	v_add_co_u32 v0, s0, s10, v0
	v_add_co_ci_u32_e64 v1, null, s11, 0, s0
	s_and_b32 s0, 0xffff, s30
	s_cmp_lt_i32 s0, 11
	s_cbranch_scc1 .LBB9_591
; %bb.585:
	s_cmp_gt_i32 s0, 25
	s_cbranch_scc0 .LBB9_592
; %bb.586:
	s_cmp_gt_i32 s0, 28
	s_cbranch_scc0 .LBB9_593
	;; [unrolled: 3-line block ×4, first 2 shown]
; %bb.589:
	s_cmp_eq_u32 s0, 46
	s_mov_b32 s23, 0
	s_cbranch_scc0 .LBB9_600
; %bb.590:
	global_load_dword v3, v[0:1], off
	s_mov_b32 s22, -1
	s_mov_b32 s1, 0
	s_waitcnt vmcnt(0)
	v_lshlrev_b32_e32 v3, 16, v3
	v_cvt_f64_f32_e32 v[3:4], v3
	s_branch .LBB9_602
.LBB9_591:
	s_mov_b32 s23, -1
	s_mov_b32 s22, 0
	s_mov_b32 s1, s39
                                        ; implicit-def: $vgpr3_vgpr4
	s_branch .LBB9_667
.LBB9_592:
	s_mov_b32 s23, -1
	s_mov_b32 s22, 0
	s_mov_b32 s1, s39
                                        ; implicit-def: $vgpr3_vgpr4
	s_branch .LBB9_633
.LBB9_593:
	s_mov_b32 s23, -1
	s_mov_b32 s22, 0
	s_mov_b32 s1, s39
                                        ; implicit-def: $vgpr3_vgpr4
	s_branch .LBB9_612
.LBB9_594:
	s_mov_b32 s23, -1
	s_mov_b32 s22, 0
	s_mov_b32 s1, s39
                                        ; implicit-def: $vgpr3_vgpr4
	s_branch .LBB9_607
.LBB9_595:
	s_andn2_saveexec_b32 s42, s42
	s_cbranch_execz .LBB9_364
.LBB9_596:
	v_add_f32_e64 v3, 0x46000000, |v2|
	s_andn2_b32 s40, s40, exec_lo
	v_and_b32_e32 v3, 0xff, v3
	v_cmp_ne_u32_e32 vcc_lo, 0, v3
	s_and_b32 s43, vcc_lo, exec_lo
	s_or_b32 s40, s40, s43
	s_or_b32 exec_lo, exec_lo, s42
	v_mov_b32_e32 v6, 0
	s_and_saveexec_b32 s42, s40
	s_cbranch_execnz .LBB9_365
	s_branch .LBB9_366
.LBB9_597:
	s_mov_b32 s23, -1
	s_mov_b32 s22, 0
	s_mov_b32 s1, s39
	s_branch .LBB9_601
.LBB9_598:
	s_andn2_saveexec_b32 s42, s42
	s_cbranch_execz .LBB9_377
.LBB9_599:
	v_add_f32_e64 v3, 0x42800000, |v2|
	s_andn2_b32 s40, s40, exec_lo
	v_and_b32_e32 v3, 0xff, v3
	v_cmp_ne_u32_e32 vcc_lo, 0, v3
	s_and_b32 s43, vcc_lo, exec_lo
	s_or_b32 s40, s40, s43
	s_or_b32 exec_lo, exec_lo, s42
	v_mov_b32_e32 v6, 0
	s_and_saveexec_b32 s42, s40
	s_cbranch_execnz .LBB9_378
	s_branch .LBB9_379
.LBB9_600:
	s_mov_b32 s1, -1
	s_mov_b32 s22, 0
.LBB9_601:
                                        ; implicit-def: $vgpr3_vgpr4
.LBB9_602:
	s_and_b32 vcc_lo, exec_lo, s23
	s_cbranch_vccz .LBB9_606
; %bb.603:
	s_cmp_eq_u32 s0, 44
	s_cbranch_scc0 .LBB9_605
; %bb.604:
	global_load_ubyte v5, v[0:1], off
	s_mov_b32 s1, 0
	s_mov_b32 s22, -1
	s_waitcnt vmcnt(0)
	v_lshlrev_b32_e32 v3, 23, v5
	v_cmp_ne_u32_e32 vcc_lo, 0xff, v5
	v_cvt_f64_f32_e32 v[3:4], v3
	v_cndmask_b32_e32 v3, 0x20000000, v3, vcc_lo
	v_cndmask_b32_e32 v4, 0x7ff80000, v4, vcc_lo
	v_cmp_ne_u32_e32 vcc_lo, 0, v5
	v_cndmask_b32_e32 v4, 0x38000000, v4, vcc_lo
	v_cndmask_b32_e32 v3, 0, v3, vcc_lo
	s_branch .LBB9_606
.LBB9_605:
	s_mov_b32 s1, -1
                                        ; implicit-def: $vgpr3_vgpr4
.LBB9_606:
	s_mov_b32 s23, 0
.LBB9_607:
	s_and_b32 vcc_lo, exec_lo, s23
	s_cbranch_vccz .LBB9_611
; %bb.608:
	s_cmp_eq_u32 s0, 29
	s_cbranch_scc0 .LBB9_610
; %bb.609:
	global_load_dwordx2 v[3:4], v[0:1], off
	s_mov_b32 s22, -1
	s_mov_b32 s1, 0
	s_mov_b32 s23, 0
	s_waitcnt vmcnt(0)
	v_cvt_f64_u32_e32 v[4:5], v4
	v_cvt_f64_u32_e32 v[6:7], v3
	v_ldexp_f64 v[4:5], v[4:5], 32
	v_add_f64 v[3:4], v[4:5], v[6:7]
	s_branch .LBB9_612
.LBB9_610:
	s_mov_b32 s1, -1
                                        ; implicit-def: $vgpr3_vgpr4
.LBB9_611:
	s_mov_b32 s23, 0
.LBB9_612:
	s_and_b32 vcc_lo, exec_lo, s23
	s_cbranch_vccz .LBB9_632
; %bb.613:
	s_cmp_lt_i32 s0, 27
	s_cbranch_scc1 .LBB9_616
; %bb.614:
	s_cmp_gt_i32 s0, 27
	s_cbranch_scc0 .LBB9_617
; %bb.615:
	global_load_dword v3, v[0:1], off
	s_mov_b32 s22, 0
	s_waitcnt vmcnt(0)
	v_cvt_f64_u32_e32 v[3:4], v3
	s_branch .LBB9_618
.LBB9_616:
	s_mov_b32 s22, -1
                                        ; implicit-def: $vgpr3_vgpr4
	s_branch .LBB9_621
.LBB9_617:
	s_mov_b32 s22, -1
                                        ; implicit-def: $vgpr3_vgpr4
.LBB9_618:
	s_andn2_b32 vcc_lo, exec_lo, s22
	s_cbranch_vccnz .LBB9_620
; %bb.619:
	global_load_ushort v3, v[0:1], off
	s_waitcnt vmcnt(0)
	v_cvt_f64_u32_e32 v[3:4], v3
.LBB9_620:
	s_mov_b32 s22, 0
.LBB9_621:
	s_andn2_b32 vcc_lo, exec_lo, s22
	s_cbranch_vccnz .LBB9_631
; %bb.622:
	global_load_ubyte v5, v[0:1], off
	s_mov_b32 s22, 0
	s_mov_b32 s23, exec_lo
	s_waitcnt vmcnt(0)
	v_cmpx_lt_i16_e32 0x7f, v5
	s_xor_b32 s23, exec_lo, s23
	s_cbranch_execz .LBB9_626
; %bb.623:
	s_mov_b32 s22, -1
	s_mov_b32 s43, exec_lo
	v_cmpx_eq_u16_e32 0x80, v5
; %bb.624:
	s_xor_b32 s22, exec_lo, -1
; %bb.625:
	s_or_b32 exec_lo, exec_lo, s43
	s_and_b32 s22, s22, exec_lo
.LBB9_626:
	s_or_saveexec_b32 s23, s23
	v_bfrev_b32_e32 v3, 4
	v_mov_b32_e32 v4, 0x7ff80000
	s_xor_b32 exec_lo, exec_lo, s23
; %bb.627:
	v_cmp_ne_u16_e32 vcc_lo, 0, v5
	v_mov_b32_e32 v3, 0
	v_mov_b32_e32 v4, 0
	s_andn2_b32 s22, s22, exec_lo
	s_and_b32 s43, vcc_lo, exec_lo
	s_or_b32 s22, s22, s43
; %bb.628:
	s_or_b32 exec_lo, exec_lo, s23
	s_and_saveexec_b32 s23, s22
	s_cbranch_execz .LBB9_630
; %bb.629:
	v_and_b32_e32 v3, 0xffff, v5
	v_lshlrev_b32_e32 v5, 24, v5
	v_and_b32_e32 v4, 7, v3
	v_bfe_u32 v8, v3, 3, 4
	v_ffbh_u32_e32 v6, v4
	v_cmp_eq_u32_e32 vcc_lo, 0, v8
	v_min_u32_e32 v6, 32, v6
	v_subrev_nc_u32_e32 v7, 28, v6
	v_sub_nc_u32_e32 v6, 29, v6
	v_lshlrev_b32_e32 v3, v7, v3
	v_cndmask_b32_e32 v6, v8, v6, vcc_lo
	v_and_b32_e32 v3, 7, v3
	v_cndmask_b32_e32 v3, v4, v3, vcc_lo
	v_and_b32_e32 v4, 0x80000000, v5
	v_lshl_add_u32 v5, v6, 23, 0x3b800000
	v_lshlrev_b32_e32 v3, 20, v3
	v_or3_b32 v3, v4, v5, v3
	v_cvt_f64_f32_e32 v[3:4], v3
.LBB9_630:
	s_or_b32 exec_lo, exec_lo, s23
.LBB9_631:
	s_mov_b32 s22, -1
.LBB9_632:
	s_mov_b32 s23, 0
.LBB9_633:
	s_and_b32 vcc_lo, exec_lo, s23
	s_cbranch_vccz .LBB9_666
; %bb.634:
	s_cmp_gt_i32 s0, 22
	s_cbranch_scc0 .LBB9_646
; %bb.635:
	s_cmp_lt_i32 s0, 24
	s_cbranch_scc1 .LBB9_647
; %bb.636:
	s_cmp_gt_i32 s0, 24
	s_cbranch_scc0 .LBB9_648
; %bb.637:
	global_load_ubyte v5, v[0:1], off
	s_mov_b32 s22, 0
	s_mov_b32 s23, exec_lo
	s_waitcnt vmcnt(0)
	v_cmpx_lt_i16_e32 0x7f, v5
	s_xor_b32 s23, exec_lo, s23
	s_cbranch_execz .LBB9_641
; %bb.638:
	s_mov_b32 s22, -1
	s_mov_b32 s43, exec_lo
	v_cmpx_eq_u16_e32 0x80, v5
; %bb.639:
	s_xor_b32 s22, exec_lo, -1
; %bb.640:
	s_or_b32 exec_lo, exec_lo, s43
	s_and_b32 s22, s22, exec_lo
.LBB9_641:
	s_or_saveexec_b32 s23, s23
	v_bfrev_b32_e32 v3, 4
	v_mov_b32_e32 v4, 0x7ff80000
	s_xor_b32 exec_lo, exec_lo, s23
; %bb.642:
	v_cmp_ne_u16_e32 vcc_lo, 0, v5
	v_mov_b32_e32 v3, 0
	v_mov_b32_e32 v4, 0
	s_andn2_b32 s22, s22, exec_lo
	s_and_b32 s43, vcc_lo, exec_lo
	s_or_b32 s22, s22, s43
; %bb.643:
	s_or_b32 exec_lo, exec_lo, s23
	s_and_saveexec_b32 s23, s22
	s_cbranch_execz .LBB9_645
; %bb.644:
	v_and_b32_e32 v3, 0xffff, v5
	v_lshlrev_b32_e32 v5, 24, v5
	v_and_b32_e32 v4, 3, v3
	v_bfe_u32 v8, v3, 2, 5
	v_ffbh_u32_e32 v6, v4
	v_cmp_eq_u32_e32 vcc_lo, 0, v8
	v_min_u32_e32 v6, 32, v6
	v_subrev_nc_u32_e32 v7, 29, v6
	v_sub_nc_u32_e32 v6, 30, v6
	v_lshlrev_b32_e32 v3, v7, v3
	v_cndmask_b32_e32 v6, v8, v6, vcc_lo
	v_and_b32_e32 v3, 3, v3
	v_cndmask_b32_e32 v3, v4, v3, vcc_lo
	v_and_b32_e32 v4, 0x80000000, v5
	v_lshl_add_u32 v5, v6, 23, 0x37800000
	v_lshlrev_b32_e32 v3, 21, v3
	v_or3_b32 v3, v4, v5, v3
	v_cvt_f64_f32_e32 v[3:4], v3
.LBB9_645:
	s_or_b32 exec_lo, exec_lo, s23
	s_mov_b32 s22, 0
	s_branch .LBB9_649
.LBB9_646:
	s_mov_b32 s23, -1
                                        ; implicit-def: $vgpr3_vgpr4
	s_branch .LBB9_655
.LBB9_647:
	s_mov_b32 s22, -1
                                        ; implicit-def: $vgpr3_vgpr4
	s_branch .LBB9_652
.LBB9_648:
	s_mov_b32 s22, -1
                                        ; implicit-def: $vgpr3_vgpr4
.LBB9_649:
	s_and_b32 vcc_lo, exec_lo, s22
	s_cbranch_vccz .LBB9_651
; %bb.650:
	global_load_ubyte v3, v[0:1], off
	s_waitcnt vmcnt(0)
	v_lshlrev_b32_e32 v3, 24, v3
	v_and_b32_e32 v4, 0x7f000000, v3
	v_ffbh_u32_e32 v5, v4
	v_add_nc_u32_e32 v7, 0x1000000, v4
	v_cmp_ne_u32_e32 vcc_lo, 0, v4
	v_min_u32_e32 v5, 32, v5
	v_sub_nc_u32_e64 v5, v5, 4 clamp
	v_lshlrev_b32_e32 v6, v5, v4
	v_lshlrev_b32_e32 v5, 23, v5
	v_lshrrev_b32_e32 v6, 4, v6
	v_sub_nc_u32_e32 v5, v6, v5
	v_ashrrev_i32_e32 v6, 8, v7
	v_add_nc_u32_e32 v5, 0x3c000000, v5
	v_and_or_b32 v5, 0x7f800000, v6, v5
	v_cndmask_b32_e32 v4, 0, v5, vcc_lo
	v_and_or_b32 v3, 0x80000000, v3, v4
	v_cvt_f64_f32_e32 v[3:4], v3
.LBB9_651:
	s_mov_b32 s22, 0
.LBB9_652:
	s_andn2_b32 vcc_lo, exec_lo, s22
	s_cbranch_vccnz .LBB9_654
; %bb.653:
	global_load_ubyte v3, v[0:1], off
	s_waitcnt vmcnt(0)
	v_lshlrev_b32_e32 v4, 25, v3
	v_lshlrev_b16 v3, 8, v3
	v_lshrrev_b32_e32 v5, 4, v4
	v_and_or_b32 v6, 0x7f00, v3, 0.5
	v_cmp_gt_u32_e32 vcc_lo, 0x8000000, v4
	v_bfe_i32 v3, v3, 0, 16
	v_or_b32_e32 v5, 0x70000000, v5
	v_add_f32_e32 v6, -0.5, v6
	v_mul_f32_e32 v5, 0x7800000, v5
	v_cndmask_b32_e32 v4, v5, v6, vcc_lo
	v_and_or_b32 v3, 0x80000000, v3, v4
	v_cvt_f64_f32_e32 v[3:4], v3
.LBB9_654:
	s_mov_b32 s23, 0
	s_mov_b32 s22, -1
.LBB9_655:
	s_andn2_b32 vcc_lo, exec_lo, s23
	s_cbranch_vccnz .LBB9_666
; %bb.656:
	s_cmp_gt_i32 s0, 14
	s_cbranch_scc0 .LBB9_659
; %bb.657:
	s_cmp_eq_u32 s0, 15
	s_cbranch_scc0 .LBB9_660
; %bb.658:
	global_load_ushort v3, v[0:1], off
	s_mov_b32 s22, -1
	s_mov_b32 s1, 0
	s_waitcnt vmcnt(0)
	v_lshlrev_b32_e32 v3, 16, v3
	v_cvt_f64_f32_e32 v[3:4], v3
	s_branch .LBB9_661
.LBB9_659:
	s_mov_b32 s23, -1
                                        ; implicit-def: $vgpr3_vgpr4
	s_branch .LBB9_662
.LBB9_660:
	s_mov_b32 s1, -1
                                        ; implicit-def: $vgpr3_vgpr4
.LBB9_661:
	s_mov_b32 s23, 0
.LBB9_662:
	s_and_b32 vcc_lo, exec_lo, s23
	s_cbranch_vccz .LBB9_666
; %bb.663:
	s_cmp_eq_u32 s0, 11
	s_cbranch_scc0 .LBB9_665
; %bb.664:
	global_load_ubyte v3, v[0:1], off
	s_mov_b32 s1, 0
	s_mov_b32 s22, -1
	s_waitcnt vmcnt(0)
	v_cmp_ne_u16_e32 vcc_lo, 0, v3
	v_mov_b32_e32 v3, 0
	v_cndmask_b32_e64 v4, 0, 0x3ff00000, vcc_lo
	s_branch .LBB9_666
.LBB9_665:
	s_mov_b32 s1, -1
                                        ; implicit-def: $vgpr3_vgpr4
.LBB9_666:
	s_mov_b32 s23, 0
.LBB9_667:
	s_and_b32 vcc_lo, exec_lo, s23
	s_cbranch_vccz .LBB9_716
; %bb.668:
	s_cmp_lt_i32 s0, 5
	s_cbranch_scc1 .LBB9_673
; %bb.669:
	s_cmp_lt_i32 s0, 8
	s_cbranch_scc1 .LBB9_674
	;; [unrolled: 3-line block ×3, first 2 shown]
; %bb.671:
	s_cmp_gt_i32 s0, 9
	s_cbranch_scc0 .LBB9_676
; %bb.672:
	global_load_dwordx2 v[3:4], v[0:1], off
	s_mov_b32 s22, 0
	s_branch .LBB9_677
.LBB9_673:
	s_mov_b32 s22, -1
                                        ; implicit-def: $vgpr3_vgpr4
	s_branch .LBB9_695
.LBB9_674:
	s_mov_b32 s22, -1
                                        ; implicit-def: $vgpr3_vgpr4
	s_branch .LBB9_683
.LBB9_675:
	s_mov_b32 s22, -1
                                        ; implicit-def: $vgpr3_vgpr4
	s_branch .LBB9_680
.LBB9_676:
	s_mov_b32 s22, -1
                                        ; implicit-def: $vgpr3_vgpr4
.LBB9_677:
	s_andn2_b32 vcc_lo, exec_lo, s22
	s_cbranch_vccnz .LBB9_679
; %bb.678:
	global_load_dword v3, v[0:1], off
	s_waitcnt vmcnt(0)
	v_cvt_f64_f32_e32 v[3:4], v3
.LBB9_679:
	s_mov_b32 s22, 0
.LBB9_680:
	s_andn2_b32 vcc_lo, exec_lo, s22
	s_cbranch_vccnz .LBB9_682
; %bb.681:
	global_load_dword v3, v[0:1], off
	s_waitcnt vmcnt(0)
	v_cvt_f32_f16_e32 v3, v3
	v_cvt_f64_f32_e32 v[3:4], v3
.LBB9_682:
	s_mov_b32 s22, 0
.LBB9_683:
	s_andn2_b32 vcc_lo, exec_lo, s22
	s_cbranch_vccnz .LBB9_694
; %bb.684:
	s_cmp_lt_i32 s0, 6
	s_cbranch_scc1 .LBB9_687
; %bb.685:
	s_cmp_gt_i32 s0, 6
	s_cbranch_scc0 .LBB9_688
; %bb.686:
	global_load_dwordx2 v[3:4], v[0:1], off
	s_mov_b32 s22, 0
	s_branch .LBB9_689
.LBB9_687:
	s_mov_b32 s22, -1
                                        ; implicit-def: $vgpr3_vgpr4
	s_branch .LBB9_692
.LBB9_688:
	s_mov_b32 s22, -1
                                        ; implicit-def: $vgpr3_vgpr4
.LBB9_689:
	s_andn2_b32 vcc_lo, exec_lo, s22
	s_cbranch_vccnz .LBB9_691
; %bb.690:
	global_load_dword v3, v[0:1], off
	s_waitcnt vmcnt(0)
	v_cvt_f64_f32_e32 v[3:4], v3
.LBB9_691:
	s_mov_b32 s22, 0
.LBB9_692:
	s_andn2_b32 vcc_lo, exec_lo, s22
	s_cbranch_vccnz .LBB9_694
; %bb.693:
	global_load_ushort v3, v[0:1], off
	s_waitcnt vmcnt(0)
	v_cvt_f32_f16_e32 v3, v3
	v_cvt_f64_f32_e32 v[3:4], v3
.LBB9_694:
	s_mov_b32 s22, 0
.LBB9_695:
	s_andn2_b32 vcc_lo, exec_lo, s22
	s_cbranch_vccnz .LBB9_715
; %bb.696:
	s_cmp_lt_i32 s0, 2
	s_cbranch_scc1 .LBB9_700
; %bb.697:
	s_cmp_lt_i32 s0, 3
	s_cbranch_scc1 .LBB9_701
; %bb.698:
	s_cmp_gt_i32 s0, 3
	s_cbranch_scc0 .LBB9_702
; %bb.699:
	global_load_dwordx2 v[3:4], v[0:1], off
	s_mov_b32 s22, 0
	s_waitcnt vmcnt(0)
	v_cvt_f64_i32_e32 v[4:5], v4
	v_cvt_f64_u32_e32 v[6:7], v3
	v_ldexp_f64 v[4:5], v[4:5], 32
	v_add_f64 v[3:4], v[4:5], v[6:7]
	s_branch .LBB9_703
.LBB9_700:
	s_mov_b32 s22, -1
                                        ; implicit-def: $vgpr3_vgpr4
	s_branch .LBB9_709
.LBB9_701:
	s_mov_b32 s22, -1
                                        ; implicit-def: $vgpr3_vgpr4
	s_branch .LBB9_706
.LBB9_702:
	s_mov_b32 s22, -1
                                        ; implicit-def: $vgpr3_vgpr4
.LBB9_703:
	s_andn2_b32 vcc_lo, exec_lo, s22
	s_cbranch_vccnz .LBB9_705
; %bb.704:
	global_load_dword v3, v[0:1], off
	s_waitcnt vmcnt(0)
	v_cvt_f64_i32_e32 v[3:4], v3
.LBB9_705:
	s_mov_b32 s22, 0
.LBB9_706:
	s_andn2_b32 vcc_lo, exec_lo, s22
	s_cbranch_vccnz .LBB9_708
; %bb.707:
	global_load_sshort v3, v[0:1], off
	s_waitcnt vmcnt(0)
	v_cvt_f64_i32_e32 v[3:4], v3
.LBB9_708:
	s_mov_b32 s22, 0
.LBB9_709:
	s_andn2_b32 vcc_lo, exec_lo, s22
	s_cbranch_vccnz .LBB9_715
; %bb.710:
	s_cmp_gt_i32 s0, 0
	s_mov_b32 s0, 0
	s_cbranch_scc0 .LBB9_712
; %bb.711:
	global_load_sbyte v3, v[0:1], off
	s_waitcnt vmcnt(0)
	v_cvt_f64_i32_e32 v[3:4], v3
	s_branch .LBB9_713
.LBB9_712:
	s_mov_b32 s0, -1
                                        ; implicit-def: $vgpr3_vgpr4
.LBB9_713:
	s_andn2_b32 vcc_lo, exec_lo, s0
	s_cbranch_vccnz .LBB9_715
; %bb.714:
	global_load_ubyte v0, v[0:1], off
	s_waitcnt vmcnt(0)
	v_cvt_f64_u32_e32 v[3:4], v0
.LBB9_715:
	s_mov_b32 s22, -1
.LBB9_716:
	s_andn2_b32 vcc_lo, exec_lo, s22
	s_cbranch_vccnz .LBB9_736
; %bb.717:
	s_waitcnt vmcnt(0)
	v_cmp_ge_f64_e64 s0, 0x40200000, |v[3:4]|
                                        ; implicit-def: $vgpr0_vgpr1
	s_and_saveexec_b32 s22, s0
	s_xor_b32 s0, exec_lo, s22
	s_cbranch_execz .LBB9_723
; %bb.718:
	v_fma_f64 v[0:1], |v[3:4]|, 0.5, -2.0
	s_mov_b32 s22, 0xc38a0576
	s_mov_b32 s23, 0xbc7857d0
	;; [unrolled: 1-line block ×4, first 2 shown]
	v_fma_f64 v[5:6], v[0:1], s[44:45], s[22:23]
	s_mov_b32 s45, 0xbc499f2a
	s_mov_b32 s22, 0xe593bfac
	;; [unrolled: 1-line block ×3, first 2 shown]
	v_fma_f64 v[7:8], v[0:1], v[5:6], s[44:45]
	s_mov_b32 s44, 0x3b39803f
	s_mov_b32 s45, 0xbc7abc9e
	v_add_f64 v[7:8], v[7:8], s[22:23]
	s_mov_b32 s22, 0x7e0d1573
	s_mov_b32 s23, 0xbcd3eaaa
	v_fma_f64 v[5:6], v[0:1], v[7:8], -v[5:6]
	v_add_f64 v[5:6], v[5:6], s[22:23]
	s_mov_b32 s22, 0x615290c
	s_mov_b32 s23, 0x3d011d7f
	v_fma_f64 v[7:8], v[0:1], v[5:6], -v[7:8]
	;; [unrolled: 4-line block ×20, first 2 shown]
	v_add_f64 v[7:8], v[7:8], s[22:23]
	s_mov_b32 s22, 0x652b82fe
	s_mov_b32 s23, 0x3ff71547
	v_mul_f64 v[9:10], |v[3:4]|, s[22:23]
	s_mov_b32 s22, 0x7913a26a
	s_mov_b32 s23, 0xbf85a29f
	v_fma_f64 v[5:6], v[0:1], v[7:8], -v[5:6]
	v_rndne_f64_e32 v[9:10], v[9:10]
	v_add_f64 v[5:6], v[5:6], s[22:23]
	s_mov_b32 s22, 0xfefa39ef
	s_mov_b32 s23, 0xbfe62e42
	v_fma_f64 v[12:13], v[9:10], s[22:23], |v[3:4]|
	s_mov_b32 s22, 0xe7bb2349
	s_mov_b32 s23, 0x3f9951e3
	v_fma_f64 v[7:8], v[0:1], v[5:6], -v[7:8]
	v_fma_f64 v[12:13], v[9:10], s[44:45], v[12:13]
	s_mov_b32 s44, 0x6a5dcb37
	s_mov_b32 s45, 0x3e5ade15
	v_cvt_i32_f64_e32 v9, v[9:10]
	v_add_f64 v[7:8], v[7:8], s[22:23]
	s_mov_b32 s22, 0xfca7ab0c
	s_mov_b32 s23, 0x3e928af3
	v_fma_f64 v[14:15], v[12:13], s[44:45], s[22:23]
	s_mov_b32 s22, 0x537c9ebc
	s_mov_b32 s44, 0x623fde64
	s_mov_b32 s23, 0xbfab1bbc
	s_mov_b32 s45, 0x3ec71dee
	v_fma_f64 v[5:6], v[0:1], v[7:8], -v[5:6]
	v_fma_f64 v[14:15], v[12:13], v[14:15], s[44:45]
	s_mov_b32 s44, 0x14761f6e
	s_mov_b32 s45, 0x3f2a01a0
	v_add_f64 v[5:6], v[5:6], s[22:23]
	s_mov_b32 s22, 0x7c89e6b0
	s_mov_b32 s23, 0x3efa0199
	v_fma_f64 v[14:15], v[12:13], v[14:15], s[22:23]
	s_mov_b32 s22, 0xd536f53c
	s_mov_b32 s23, 0x3fba46da
	v_fma_f64 v[7:8], v[0:1], v[5:6], -v[7:8]
	v_fma_f64 v[14:15], v[12:13], v[14:15], s[44:45]
	s_mov_b32 s44, 0x11122322
	s_mov_b32 s45, 0x3f811111
	v_add_f64 v[7:8], v[7:8], s[22:23]
	s_mov_b32 s22, 0x1852b7b0
	s_mov_b32 s23, 0x3f56c16c
	v_fma_f64 v[14:15], v[12:13], v[14:15], s[22:23]
	s_mov_b32 s22, 0x469192e
	s_mov_b32 s23, 0xbfc694d1
	;; [unrolled: 10-line block ×3, first 2 shown]
	v_fma_f64 v[0:1], v[0:1], v[5:6], -v[7:8]
	v_fma_f64 v[5:6], v[12:13], v[14:15], s[44:45]
	v_add_f64 v[0:1], v[0:1], s[22:23]
	s_mov_b32 s22, 11
	s_mov_b32 s23, 0x3fe00000
	v_fma_f64 v[5:6], v[12:13], v[5:6], s[22:23]
	s_mov_b32 s22, exec_lo
	v_add_f64 v[0:1], v[0:1], -v[7:8]
	v_fma_f64 v[5:6], v[12:13], v[5:6], 1.0
	v_mul_f64 v[0:1], v[0:1], 0.5
	v_fma_f64 v[7:8], v[12:13], v[5:6], 1.0
	v_mul_f64 v[5:6], |v[3:4]|, v[0:1]
                                        ; implicit-def: $vgpr0_vgpr1
	v_cmpx_ngt_f64_e32 0, v[3:4]
	s_xor_b32 s22, exec_lo, s22
	s_cbranch_execz .LBB9_720
; %bb.719:
	v_ldexp_f64 v[0:1], v[7:8], v9
	v_cmp_nlt_f64_e64 vcc_lo, 0x40900000, |v[3:4]|
                                        ; implicit-def: $vgpr7_vgpr8
                                        ; implicit-def: $vgpr9
                                        ; implicit-def: $vgpr3_vgpr4
	v_cndmask_b32_e32 v1, 0x7ff00000, v1, vcc_lo
	v_cndmask_b32_e32 v0, 0, v0, vcc_lo
	v_mul_f64 v[0:1], v[0:1], v[5:6]
                                        ; implicit-def: $vgpr5_vgpr6
.LBB9_720:
	s_andn2_saveexec_b32 s22, s22
	s_cbranch_execz .LBB9_722
; %bb.721:
	v_ldexp_f64 v[0:1], -v[7:8], v9
	v_cmp_nlt_f64_e64 vcc_lo, 0x40900000, |v[3:4]|
	v_cndmask_b32_e32 v1, 0xfff00000, v1, vcc_lo
	v_cndmask_b32_e32 v0, 0, v0, vcc_lo
	v_mul_f64 v[0:1], v[0:1], v[5:6]
.LBB9_722:
	s_or_b32 exec_lo, exec_lo, s22
                                        ; implicit-def: $vgpr3_vgpr4
.LBB9_723:
	s_andn2_saveexec_b32 s22, s0
	s_cbranch_execz .LBB9_729
; %bb.724:
	v_and_b32_e32 v1, 0x7fffffff, v4
	v_mov_b32_e32 v0, v3
	s_mov_b32 s44, 0xea87b950
	s_mov_b32 s45, 0x3c545b8a
	;; [unrolled: 1-line block ×4, first 2 shown]
	v_div_scale_f64 v[5:6], null, v[0:1], v[0:1], 0x40400000
	v_div_scale_f64 v[0:1], vcc_lo, 0x40400000, v[0:1], 0x40400000
	v_cmp_ngt_f64_e64 s0, 0, v[3:4]
	v_rcp_f64_e32 v[7:8], v[5:6]
	v_fma_f64 v[9:10], -v[5:6], v[7:8], 1.0
	v_fma_f64 v[7:8], v[7:8], v[9:10], v[7:8]
	v_fma_f64 v[9:10], -v[5:6], v[7:8], 1.0
	v_fma_f64 v[7:8], v[7:8], v[9:10], v[7:8]
	v_mul_f64 v[9:10], v[0:1], v[7:8]
	v_fma_f64 v[0:1], -v[5:6], v[9:10], v[0:1]
	v_div_fmas_f64 v[0:1], v[0:1], v[7:8], v[9:10]
	v_cmp_nlt_f64_e64 vcc_lo, 0x40900000, |v[3:4]|
	v_div_fixup_f64 v[0:1], v[0:1], |v[3:4]|, 0x40400000
	v_add_f64 v[0:1], v[0:1], -2.0
	v_fma_f64 v[5:6], v[0:1], s[46:47], s[44:45]
	s_mov_b32 s47, 0xbc61556d
	s_mov_b32 s44, 0xb2532277
	;; [unrolled: 1-line block ×3, first 2 shown]
	v_fma_f64 v[7:8], v[0:1], v[5:6], s[46:47]
	s_mov_b32 s46, 0x6a5dcb37
	s_mov_b32 s47, 0x3e5ade15
	v_add_f64 v[7:8], v[7:8], s[44:45]
	s_mov_b32 s44, 0x9c773320
	s_mov_b32 s45, 0xbc82806c
	v_fma_f64 v[5:6], v[0:1], v[7:8], -v[5:6]
	v_add_f64 v[5:6], v[5:6], s[44:45]
	s_mov_b32 s44, 0xfceb588a
	s_mov_b32 s45, 0x3cb55915
	v_fma_f64 v[7:8], v[0:1], v[5:6], -v[7:8]
	;; [unrolled: 4-line block ×14, first 2 shown]
	v_add_f64 v[7:8], v[7:8], s[44:45]
	s_mov_b32 s44, 0x652b82fe
	s_mov_b32 s45, 0x3ff71547
	v_mul_f64 v[9:10], |v[3:4]|, s[44:45]
	s_mov_b32 s44, 0x5423dd80
	s_mov_b32 s45, 0xbe0334ca
	v_fma_f64 v[5:6], v[0:1], v[7:8], -v[5:6]
	v_rndne_f64_e32 v[9:10], v[9:10]
	v_add_f64 v[5:6], v[5:6], s[44:45]
	s_mov_b32 s44, 0xfefa39ef
	s_mov_b32 s45, 0xbfe62e42
	v_fma_f64 v[12:13], v[9:10], s[44:45], |v[3:4]|
	s_mov_b32 s44, 0x9ad53528
	s_mov_b32 s45, 0xbe30790b
	v_fma_f64 v[7:8], v[0:1], v[5:6], -v[7:8]
	v_add_f64 v[7:8], v[7:8], s[44:45]
	s_mov_b32 s44, 0x3b39803f
	s_mov_b32 s45, 0xbc7abc9e
	v_fma_f64 v[12:13], v[9:10], s[44:45], v[12:13]
	s_mov_b32 s44, 0xfca7ab0c
	s_mov_b32 s45, 0x3e928af3
	v_cvt_i32_f64_e32 v9, v[9:10]
	v_fma_f64 v[5:6], v[0:1], v[7:8], -v[5:6]
	v_fma_f64 v[14:15], v[12:13], s[46:47], s[44:45]
	s_mov_b32 s44, 0x94bb46c1
	s_mov_b32 s45, 0xbe5c4153
	v_add_f64 v[5:6], v[5:6], s[44:45]
	s_mov_b32 s44, 0x623fde64
	s_mov_b32 s45, 0x3ec71dee
	v_fma_f64 v[14:15], v[12:13], v[14:15], s[44:45]
	s_mov_b32 s44, 0x7c89e6b0
	s_mov_b32 s45, 0x3efa0199
	v_fma_f64 v[7:8], v[0:1], v[5:6], -v[7:8]
	v_fma_f64 v[14:15], v[12:13], v[14:15], s[44:45]
	s_mov_b32 s44, 0x2e9e5443
	s_mov_b32 s45, 0xbe90dbfd
	v_add_f64 v[7:8], v[7:8], s[44:45]
	s_mov_b32 s44, 0x14761f6e
	s_mov_b32 s45, 0x3f2a01a0
	v_fma_f64 v[14:15], v[12:13], v[14:15], s[44:45]
	s_mov_b32 s44, 0x1852b7b0
	s_mov_b32 s45, 0x3f56c16c
	v_fma_f64 v[5:6], v[0:1], v[7:8], -v[5:6]
	v_fma_f64 v[14:15], v[12:13], v[14:15], s[44:45]
	s_mov_b32 s44, 0x49ca0373
	s_mov_b32 s45, 0xbed048df
	v_add_f64 v[5:6], v[5:6], s[44:45]
	s_mov_b32 s44, 0x11122322
	s_mov_b32 s45, 0x3f811111
	v_fma_f64 v[14:15], v[12:13], v[14:15], s[44:45]
	s_mov_b32 s44, 0x555502a1
	s_mov_b32 s45, 0x3fa55555
	v_fma_f64 v[7:8], v[0:1], v[5:6], -v[7:8]
	v_fma_f64 v[14:15], v[12:13], v[14:15], s[44:45]
	s_mov_b32 s44, 0x804aa9a6
	s_mov_b32 s45, 0xbf1cfd7f
	v_add_f64 v[7:8], v[7:8], s[44:45]
	s_mov_b32 s44, 0x55555511
	s_mov_b32 s45, 0x3fc55555
	v_fma_f64 v[14:15], v[12:13], v[14:15], s[44:45]
	s_mov_b32 s44, 11
	s_mov_b32 s45, 0x3fe00000
	v_fma_f64 v[5:6], v[0:1], v[7:8], -v[5:6]
	v_fma_f64 v[14:15], v[12:13], v[14:15], s[44:45]
	s_mov_b32 s44, 0x53fcdb4c
	s_mov_b32 s45, 0xbf83fda0
	v_add_f64 v[5:6], v[5:6], s[44:45]
	s_mov_b32 s44, 0xb55b1514
	s_mov_b32 s45, 0x3fe8ea18
	v_fma_f64 v[14:15], v[12:13], v[14:15], 1.0
	v_fma_f64 v[0:1], v[0:1], v[5:6], -v[7:8]
	v_fma_f64 v[5:6], v[12:13], v[14:15], 1.0
	v_add_f64 v[0:1], v[0:1], s[44:45]
	v_ldexp_f64 v[5:6], v[5:6], v9
	v_add_f64 v[7:8], v[0:1], -v[7:8]
                                        ; implicit-def: $vgpr0_vgpr1
	v_cndmask_b32_e32 v6, 0x7ff00000, v6, vcc_lo
	v_cndmask_b32_e32 v5, 0, v5, vcc_lo
	s_and_saveexec_b32 s23, s0
	s_xor_b32 s0, exec_lo, s23
	s_cbranch_execz .LBB9_726
; %bb.725:
	v_cmp_gt_f64_e64 s23, 0x10000000, |v[3:4]|
	v_mul_f64 v[7:8], v[7:8], 0.5
	v_cndmask_b32_e64 v0, 0, 0x100, s23
	v_mul_f64 v[5:6], v[5:6], v[7:8]
	v_ldexp_f64 v[0:1], |v[3:4]|, v0
	v_rsq_f64_e32 v[3:4], v[0:1]
	v_cmp_class_f64_e64 vcc_lo, v[0:1], 0x260
	v_mul_f64 v[9:10], v[0:1], v[3:4]
	v_mul_f64 v[3:4], v[3:4], 0.5
	v_fma_f64 v[12:13], -v[3:4], v[9:10], 0.5
	v_fma_f64 v[9:10], v[9:10], v[12:13], v[9:10]
	v_fma_f64 v[3:4], v[3:4], v[12:13], v[3:4]
	v_fma_f64 v[12:13], -v[9:10], v[9:10], v[0:1]
	v_fma_f64 v[9:10], v[12:13], v[3:4], v[9:10]
	v_fma_f64 v[12:13], -v[9:10], v[9:10], v[0:1]
	v_fma_f64 v[3:4], v[12:13], v[3:4], v[9:10]
	v_cndmask_b32_e64 v9, 0, 0xffffff80, s23
	v_ldexp_f64 v[3:4], v[3:4], v9
	v_cndmask_b32_e32 v1, v4, v1, vcc_lo
	v_cndmask_b32_e32 v0, v3, v0, vcc_lo
	v_div_scale_f64 v[3:4], null, v[0:1], v[0:1], v[5:6]
	v_rcp_f64_e32 v[7:8], v[3:4]
	v_fma_f64 v[9:10], -v[3:4], v[7:8], 1.0
	v_fma_f64 v[7:8], v[7:8], v[9:10], v[7:8]
	v_fma_f64 v[9:10], -v[3:4], v[7:8], 1.0
	v_fma_f64 v[7:8], v[7:8], v[9:10], v[7:8]
	v_div_scale_f64 v[9:10], vcc_lo, v[5:6], v[0:1], v[5:6]
	v_mul_f64 v[12:13], v[9:10], v[7:8]
	v_fma_f64 v[3:4], -v[3:4], v[12:13], v[9:10]
	v_div_fmas_f64 v[3:4], v[3:4], v[7:8], v[12:13]
                                        ; implicit-def: $vgpr7_vgpr8
	v_div_fixup_f64 v[0:1], v[3:4], v[0:1], v[5:6]
                                        ; implicit-def: $vgpr3_vgpr4
                                        ; implicit-def: $vgpr5_vgpr6
.LBB9_726:
	s_andn2_saveexec_b32 s0, s0
	s_cbranch_execz .LBB9_728
; %bb.727:
	v_cmp_gt_f64_e64 s23, 0x10000000, |v[3:4]|
	v_mul_f64 v[7:8], v[7:8], -0.5
	v_cndmask_b32_e64 v0, 0, 0x100, s23
	v_mul_f64 v[5:6], v[5:6], v[7:8]
	v_ldexp_f64 v[0:1], |v[3:4]|, v0
	v_rsq_f64_e32 v[3:4], v[0:1]
	v_cmp_class_f64_e64 vcc_lo, v[0:1], 0x260
	v_mul_f64 v[9:10], v[0:1], v[3:4]
	v_mul_f64 v[3:4], v[3:4], 0.5
	v_fma_f64 v[12:13], -v[3:4], v[9:10], 0.5
	v_fma_f64 v[9:10], v[9:10], v[12:13], v[9:10]
	v_fma_f64 v[3:4], v[3:4], v[12:13], v[3:4]
	v_fma_f64 v[12:13], -v[9:10], v[9:10], v[0:1]
	v_fma_f64 v[9:10], v[12:13], v[3:4], v[9:10]
	v_fma_f64 v[12:13], -v[9:10], v[9:10], v[0:1]
	v_fma_f64 v[3:4], v[12:13], v[3:4], v[9:10]
	v_cndmask_b32_e64 v9, 0, 0xffffff80, s23
	v_ldexp_f64 v[3:4], v[3:4], v9
	v_cndmask_b32_e32 v1, v4, v1, vcc_lo
	v_cndmask_b32_e32 v0, v3, v0, vcc_lo
	v_div_scale_f64 v[3:4], null, v[0:1], v[0:1], v[5:6]
	v_rcp_f64_e32 v[7:8], v[3:4]
	v_fma_f64 v[9:10], -v[3:4], v[7:8], 1.0
	v_fma_f64 v[7:8], v[7:8], v[9:10], v[7:8]
	v_fma_f64 v[9:10], -v[3:4], v[7:8], 1.0
	v_fma_f64 v[7:8], v[7:8], v[9:10], v[7:8]
	v_div_scale_f64 v[9:10], vcc_lo, v[5:6], v[0:1], v[5:6]
	v_mul_f64 v[12:13], v[9:10], v[7:8]
	v_fma_f64 v[3:4], -v[3:4], v[12:13], v[9:10]
	v_div_fmas_f64 v[3:4], v[3:4], v[7:8], v[12:13]
	v_div_fixup_f64 v[0:1], v[3:4], v[0:1], v[5:6]
.LBB9_728:
	s_or_b32 exec_lo, exec_lo, s0
.LBB9_729:
	s_or_b32 exec_lo, exec_lo, s22
	v_add_co_u32 v4, s0, s8, v2
	v_add_co_ci_u32_e64 v5, null, s9, 0, s0
	s_and_b32 s22, s29, 0xff
	s_cmp_lt_i32 s22, 11
	s_cbranch_scc1 .LBB9_737
; %bb.730:
	s_and_b32 s23, 0xffff, s22
	s_cmp_gt_i32 s23, 25
	s_cbranch_scc0 .LBB9_738
; %bb.731:
	s_cmp_gt_i32 s23, 28
	s_cbranch_scc0 .LBB9_739
; %bb.732:
	;; [unrolled: 3-line block ×4, first 2 shown]
	s_mov_b32 s44, 0
	s_mov_b32 s0, -1
	s_cmp_eq_u32 s23, 46
	s_mov_b32 s43, 0
	s_cbranch_scc0 .LBB9_742
; %bb.735:
	v_cvt_f32_f64_e32 v2, v[0:1]
	s_mov_b32 s43, -1
	s_mov_b32 s0, 0
	v_bfe_u32 v3, v2, 16, 1
	v_cmp_o_f32_e32 vcc_lo, v2, v2
	v_add3_u32 v2, v2, v3, 0x7fff
	v_mov_b32_e32 v3, 0x7fc0
	v_cndmask_b32_sdwa v2, v3, v2, vcc_lo dst_sel:DWORD dst_unused:UNUSED_PAD src0_sel:DWORD src1_sel:WORD_1
	global_store_dword v[4:5], v2, off
	s_branch .LBB9_742
.LBB9_736:
	s_mov_b32 s43, 0
	s_mov_b32 s0, s40
	s_branch .LBB9_853
.LBB9_737:
	s_mov_b32 s23, -1
	s_mov_b32 s43, 0
	s_mov_b32 s0, s40
	s_branch .LBB9_811
.LBB9_738:
	s_mov_b32 s44, -1
	s_mov_b32 s43, 0
	s_mov_b32 s0, s40
	s_branch .LBB9_769
.LBB9_739:
	s_mov_b32 s44, -1
	s_mov_b32 s43, 0
	s_mov_b32 s0, s40
	s_branch .LBB9_752
.LBB9_740:
	s_mov_b32 s44, -1
	s_mov_b32 s43, 0
	s_mov_b32 s0, s40
	s_branch .LBB9_748
.LBB9_741:
	s_mov_b32 s44, -1
	s_mov_b32 s43, 0
	s_mov_b32 s0, s40
.LBB9_742:
	s_and_b32 vcc_lo, exec_lo, s44
	s_cbranch_vccz .LBB9_747
; %bb.743:
	s_cmp_eq_u32 s23, 44
	s_mov_b32 s0, -1
	s_cbranch_scc0 .LBB9_747
; %bb.744:
	v_cvt_f32_f64_e32 v2, v[0:1]
	v_mov_b32_e32 v3, 0xff
	s_mov_b32 s43, exec_lo
	v_bfe_u32 v6, v2, 23, 8
	v_cmpx_ne_u32_e32 0xff, v6
	s_cbranch_execz .LBB9_746
; %bb.745:
	v_and_b32_e32 v3, 0x400000, v2
	v_and_or_b32 v6, 0x3fffff, v2, v6
	v_lshrrev_b32_e32 v2, 23, v2
	v_cmp_ne_u32_e32 vcc_lo, 0, v3
	v_cmp_ne_u32_e64 s0, 0, v6
	s_and_b32 s0, vcc_lo, s0
	v_cndmask_b32_e64 v3, 0, 1, s0
	v_add_nc_u32_e32 v3, v2, v3
.LBB9_746:
	s_or_b32 exec_lo, exec_lo, s43
	s_mov_b32 s43, -1
	s_mov_b32 s0, 0
	global_store_byte v[4:5], v3, off
.LBB9_747:
	s_mov_b32 s44, 0
.LBB9_748:
	s_and_b32 vcc_lo, exec_lo, s44
	s_cbranch_vccz .LBB9_751
; %bb.749:
	s_cmp_eq_u32 s23, 29
	s_mov_b32 s0, -1
	s_cbranch_scc0 .LBB9_751
; %bb.750:
	v_trunc_f64_e32 v[2:3], v[0:1]
	s_mov_b32 s43, -1
	s_mov_b32 s0, 0
	s_mov_b32 s44, 0
	v_ldexp_f64 v[6:7], v[2:3], 0xffffffe0
	v_floor_f64_e32 v[6:7], v[6:7]
	v_fma_f64 v[2:3], 0xc1f00000, v[6:7], v[2:3]
	v_cvt_u32_f64_e32 v7, v[6:7]
	v_cvt_u32_f64_e32 v6, v[2:3]
	global_store_dwordx2 v[4:5], v[6:7], off
	s_branch .LBB9_752
.LBB9_751:
	s_mov_b32 s44, 0
.LBB9_752:
	s_and_b32 vcc_lo, exec_lo, s44
	s_cbranch_vccz .LBB9_768
; %bb.753:
	s_cmp_lt_i32 s23, 27
	s_mov_b32 s43, -1
	s_cbranch_scc1 .LBB9_759
; %bb.754:
	v_cvt_u32_f64_e32 v2, v[0:1]
	s_cmp_gt_i32 s23, 27
	s_cbranch_scc0 .LBB9_756
; %bb.755:
	s_mov_b32 s43, 0
	global_store_dword v[4:5], v2, off
.LBB9_756:
	s_andn2_b32 vcc_lo, exec_lo, s43
	s_cbranch_vccnz .LBB9_758
; %bb.757:
	global_store_short v[4:5], v2, off
.LBB9_758:
	s_mov_b32 s43, 0
.LBB9_759:
	s_andn2_b32 vcc_lo, exec_lo, s43
	s_cbranch_vccnz .LBB9_767
; %bb.760:
	v_cvt_f32_f64_e32 v2, v[0:1]
	v_mov_b32_e32 v6, 0x80
	s_mov_b32 s43, exec_lo
	v_and_b32_e32 v3, 0x7fffffff, v2
	v_cmpx_gt_u32_e32 0x43800000, v3
	s_cbranch_execz .LBB9_766
; %bb.761:
	v_cmp_lt_u32_e32 vcc_lo, 0x3bffffff, v3
	s_mov_b32 s44, 0
                                        ; implicit-def: $vgpr3
	s_and_saveexec_b32 s45, vcc_lo
	s_xor_b32 s45, exec_lo, s45
	s_cbranch_execz .LBB9_883
; %bb.762:
	v_bfe_u32 v3, v2, 20, 1
	s_mov_b32 s44, exec_lo
	v_add3_u32 v3, v2, v3, 0x487ffff
	v_lshrrev_b32_e32 v3, 20, v3
	s_andn2_saveexec_b32 s45, s45
	s_cbranch_execnz .LBB9_884
.LBB9_763:
	s_or_b32 exec_lo, exec_lo, s45
	v_mov_b32_e32 v6, 0
	s_and_saveexec_b32 s45, s44
.LBB9_764:
	v_lshrrev_b32_e32 v2, 24, v2
	v_and_or_b32 v6, 0x80, v2, v3
.LBB9_765:
	s_or_b32 exec_lo, exec_lo, s45
.LBB9_766:
	s_or_b32 exec_lo, exec_lo, s43
	global_store_byte v[4:5], v6, off
.LBB9_767:
	s_mov_b32 s43, -1
.LBB9_768:
	s_mov_b32 s44, 0
.LBB9_769:
	s_and_b32 vcc_lo, exec_lo, s44
	s_cbranch_vccz .LBB9_810
; %bb.770:
	s_cmp_gt_i32 s23, 22
	s_mov_b32 s44, -1
	s_cbranch_scc0 .LBB9_802
; %bb.771:
	s_cmp_lt_i32 s23, 24
	s_mov_b32 s43, -1
	s_cbranch_scc1 .LBB9_791
; %bb.772:
	s_cmp_gt_i32 s23, 24
	s_cbranch_scc0 .LBB9_780
; %bb.773:
	v_cvt_f32_f64_e32 v2, v[0:1]
	v_mov_b32_e32 v6, 0x80
	s_mov_b32 s43, exec_lo
	v_and_b32_e32 v3, 0x7fffffff, v2
	v_cmpx_gt_u32_e32 0x47800000, v3
	s_cbranch_execz .LBB9_779
; %bb.774:
	v_cmp_lt_u32_e32 vcc_lo, 0x37ffffff, v3
	s_mov_b32 s44, 0
                                        ; implicit-def: $vgpr3
	s_and_saveexec_b32 s45, vcc_lo
	s_xor_b32 s45, exec_lo, s45
	s_cbranch_execz .LBB9_886
; %bb.775:
	v_bfe_u32 v3, v2, 21, 1
	s_mov_b32 s44, exec_lo
	v_add3_u32 v3, v2, v3, 0x88fffff
	v_lshrrev_b32_e32 v3, 21, v3
	s_andn2_saveexec_b32 s45, s45
	s_cbranch_execnz .LBB9_887
.LBB9_776:
	s_or_b32 exec_lo, exec_lo, s45
	v_mov_b32_e32 v6, 0
	s_and_saveexec_b32 s45, s44
.LBB9_777:
	v_lshrrev_b32_e32 v2, 24, v2
	v_and_or_b32 v6, 0x80, v2, v3
.LBB9_778:
	s_or_b32 exec_lo, exec_lo, s45
.LBB9_779:
	s_or_b32 exec_lo, exec_lo, s43
	s_mov_b32 s43, 0
	global_store_byte v[4:5], v6, off
.LBB9_780:
	s_and_b32 vcc_lo, exec_lo, s43
	s_cbranch_vccz .LBB9_790
; %bb.781:
	v_cvt_f32_f64_e32 v2, v[0:1]
	s_mov_b32 s43, exec_lo
                                        ; implicit-def: $vgpr3
	v_and_b32_e32 v6, 0x7fffffff, v2
	v_cmpx_gt_u32_e32 0x43f00000, v6
	s_xor_b32 s43, exec_lo, s43
	s_cbranch_execz .LBB9_787
; %bb.782:
	s_mov_b32 s44, exec_lo
                                        ; implicit-def: $vgpr3
	v_cmpx_lt_u32_e32 0x3c7fffff, v6
	s_xor_b32 s44, exec_lo, s44
; %bb.783:
	v_bfe_u32 v3, v2, 20, 1
	v_add3_u32 v3, v2, v3, 0x407ffff
	v_and_b32_e32 v6, 0xff00000, v3
	v_lshrrev_b32_e32 v3, 20, v3
	v_cmp_ne_u32_e32 vcc_lo, 0x7f00000, v6
	v_cndmask_b32_e32 v3, 0x7e, v3, vcc_lo
; %bb.784:
	s_andn2_saveexec_b32 s44, s44
; %bb.785:
	v_add_f32_e64 v3, 0x46800000, |v2|
; %bb.786:
	s_or_b32 exec_lo, exec_lo, s44
                                        ; implicit-def: $vgpr6
.LBB9_787:
	s_andn2_saveexec_b32 s43, s43
; %bb.788:
	v_mov_b32_e32 v3, 0x7f
	v_cmp_lt_u32_e32 vcc_lo, 0x7f800000, v6
	v_cndmask_b32_e32 v3, 0x7e, v3, vcc_lo
; %bb.789:
	s_or_b32 exec_lo, exec_lo, s43
	v_lshrrev_b32_e32 v2, 24, v2
	v_and_or_b32 v2, 0x80, v2, v3
	global_store_byte v[4:5], v2, off
.LBB9_790:
	s_mov_b32 s43, 0
.LBB9_791:
	s_andn2_b32 vcc_lo, exec_lo, s43
	s_cbranch_vccnz .LBB9_801
; %bb.792:
	v_cvt_f32_f64_e32 v2, v[0:1]
	s_mov_b32 s43, exec_lo
                                        ; implicit-def: $vgpr3
	v_and_b32_e32 v6, 0x7fffffff, v2
	v_cmpx_gt_u32_e32 0x47800000, v6
	s_xor_b32 s43, exec_lo, s43
	s_cbranch_execz .LBB9_798
; %bb.793:
	s_mov_b32 s44, exec_lo
                                        ; implicit-def: $vgpr3
	v_cmpx_lt_u32_e32 0x387fffff, v6
	s_xor_b32 s44, exec_lo, s44
; %bb.794:
	v_bfe_u32 v3, v2, 21, 1
	v_add3_u32 v3, v2, v3, 0x80fffff
	v_lshrrev_b32_e32 v3, 21, v3
; %bb.795:
	s_andn2_saveexec_b32 s44, s44
; %bb.796:
	v_add_f32_e64 v3, 0x43000000, |v2|
; %bb.797:
	s_or_b32 exec_lo, exec_lo, s44
                                        ; implicit-def: $vgpr6
.LBB9_798:
	s_andn2_saveexec_b32 s43, s43
; %bb.799:
	v_mov_b32_e32 v3, 0x7f
	v_cmp_lt_u32_e32 vcc_lo, 0x7f800000, v6
	v_cndmask_b32_e32 v3, 0x7c, v3, vcc_lo
; %bb.800:
	s_or_b32 exec_lo, exec_lo, s43
	v_lshrrev_b32_e32 v2, 24, v2
	v_and_or_b32 v2, 0x80, v2, v3
	global_store_byte v[4:5], v2, off
.LBB9_801:
	s_mov_b32 s44, 0
	s_mov_b32 s43, -1
.LBB9_802:
	s_andn2_b32 vcc_lo, exec_lo, s44
	s_cbranch_vccnz .LBB9_810
; %bb.803:
	s_cmp_gt_i32 s23, 14
	s_mov_b32 s44, -1
	s_cbranch_scc0 .LBB9_807
; %bb.804:
	s_cmp_eq_u32 s23, 15
	s_mov_b32 s0, -1
	s_cbranch_scc0 .LBB9_806
; %bb.805:
	v_cvt_f32_f64_e32 v2, v[0:1]
	s_mov_b32 s43, -1
	s_mov_b32 s0, 0
	v_bfe_u32 v3, v2, 16, 1
	v_cmp_o_f32_e32 vcc_lo, v2, v2
	v_add3_u32 v2, v2, v3, 0x7fff
	v_mov_b32_e32 v3, 0x7fc0
	v_cndmask_b32_sdwa v2, v3, v2, vcc_lo dst_sel:DWORD dst_unused:UNUSED_PAD src0_sel:DWORD src1_sel:WORD_1
	global_store_short v[4:5], v2, off
.LBB9_806:
	s_mov_b32 s44, 0
.LBB9_807:
	s_and_b32 vcc_lo, exec_lo, s44
	s_cbranch_vccz .LBB9_810
; %bb.808:
	s_cmp_eq_u32 s23, 11
	s_mov_b32 s0, -1
	s_cbranch_scc0 .LBB9_810
; %bb.809:
	v_cmp_neq_f64_e32 vcc_lo, 0, v[0:1]
	s_mov_b32 s43, -1
	s_mov_b32 s0, 0
	v_cndmask_b32_e64 v2, 0, 1, vcc_lo
	global_store_byte v[4:5], v2, off
.LBB9_810:
	s_mov_b32 s23, 0
.LBB9_811:
	s_and_b32 vcc_lo, exec_lo, s23
	s_cbranch_vccz .LBB9_850
; %bb.812:
	s_and_b32 s22, 0xffff, s22
	s_mov_b32 s23, -1
	s_cmp_lt_i32 s22, 5
	s_cbranch_scc1 .LBB9_833
; %bb.813:
	s_cmp_lt_i32 s22, 8
	s_cbranch_scc1 .LBB9_823
; %bb.814:
	;; [unrolled: 3-line block ×3, first 2 shown]
	s_cmp_gt_i32 s22, 9
	s_cbranch_scc0 .LBB9_817
; %bb.816:
	v_mov_b32_e32 v2, 0
	s_mov_b32 s23, 0
	v_mov_b32_e32 v3, v2
	global_store_dwordx4 v[4:5], v[0:3], off
.LBB9_817:
	s_andn2_b32 vcc_lo, exec_lo, s23
	s_cbranch_vccnz .LBB9_819
; %bb.818:
	v_cvt_f32_f64_e32 v2, v[0:1]
	v_mov_b32_e32 v3, 0
	global_store_dwordx2 v[4:5], v[2:3], off
.LBB9_819:
	s_mov_b32 s23, 0
.LBB9_820:
	s_andn2_b32 vcc_lo, exec_lo, s23
	s_cbranch_vccnz .LBB9_822
; %bb.821:
	v_and_or_b32 v2, 0x1ff, v1, v0
	v_lshrrev_b32_e32 v3, 8, v1
	v_bfe_u32 v6, v1, 20, 11
	v_cmp_ne_u32_e32 vcc_lo, 0, v2
	v_sub_nc_u32_e32 v7, 0x3f1, v6
	v_add_nc_u32_e32 v6, 0xfffffc10, v6
	v_cndmask_b32_e64 v2, 0, 1, vcc_lo
	v_and_or_b32 v2, 0xffe, v3, v2
	v_med3_i32 v3, v7, 0, 13
	v_or_b32_e32 v7, 0x1000, v2
	v_lshrrev_b32_e32 v8, v3, v7
	v_lshlrev_b32_e32 v3, v3, v8
	v_cmp_ne_u32_e32 vcc_lo, v3, v7
	v_lshl_or_b32 v7, v6, 12, v2
	v_cndmask_b32_e64 v3, 0, 1, vcc_lo
	v_cmp_gt_i32_e32 vcc_lo, 1, v6
	v_or_b32_e32 v3, v8, v3
	v_cndmask_b32_e32 v3, v7, v3, vcc_lo
	v_and_b32_e32 v7, 7, v3
	v_lshrrev_b32_e32 v3, 2, v3
	v_cmp_lt_i32_e32 vcc_lo, 5, v7
	v_cndmask_b32_e64 v8, 0, 1, vcc_lo
	v_cmp_eq_u32_e32 vcc_lo, 3, v7
	v_cndmask_b32_e64 v7, 0, 1, vcc_lo
	v_cmp_ne_u32_e32 vcc_lo, 0, v2
	v_or_b32_e32 v7, v7, v8
	v_mov_b32_e32 v8, 0x7e00
	v_add_nc_u32_e32 v3, v3, v7
	v_cndmask_b32_e32 v2, 0x7c00, v8, vcc_lo
	v_cmp_gt_i32_e32 vcc_lo, 31, v6
	v_cndmask_b32_e32 v3, 0x7c00, v3, vcc_lo
	v_cmp_eq_u32_e32 vcc_lo, 0x40f, v6
	v_cndmask_b32_e32 v2, v3, v2, vcc_lo
	v_lshrrev_b32_e32 v3, 16, v1
	v_and_or_b32 v2, 0x8000, v3, v2
	v_and_b32_e32 v2, 0xffff, v2
	global_store_dword v[4:5], v2, off
.LBB9_822:
	s_mov_b32 s23, 0
.LBB9_823:
	s_andn2_b32 vcc_lo, exec_lo, s23
	s_cbranch_vccnz .LBB9_832
; %bb.824:
	s_cmp_lt_i32 s22, 6
	s_mov_b32 s23, -1
	s_cbranch_scc1 .LBB9_830
; %bb.825:
	s_cmp_gt_i32 s22, 6
	s_cbranch_scc0 .LBB9_827
; %bb.826:
	s_mov_b32 s23, 0
	global_store_dwordx2 v[4:5], v[0:1], off
.LBB9_827:
	s_andn2_b32 vcc_lo, exec_lo, s23
	s_cbranch_vccnz .LBB9_829
; %bb.828:
	v_cvt_f32_f64_e32 v2, v[0:1]
	global_store_dword v[4:5], v2, off
.LBB9_829:
	s_mov_b32 s23, 0
.LBB9_830:
	s_andn2_b32 vcc_lo, exec_lo, s23
	s_cbranch_vccnz .LBB9_832
; %bb.831:
	v_and_or_b32 v2, 0x1ff, v1, v0
	v_lshrrev_b32_e32 v3, 8, v1
	v_bfe_u32 v6, v1, 20, 11
	v_cmp_ne_u32_e32 vcc_lo, 0, v2
	v_sub_nc_u32_e32 v7, 0x3f1, v6
	v_add_nc_u32_e32 v6, 0xfffffc10, v6
	v_cndmask_b32_e64 v2, 0, 1, vcc_lo
	v_and_or_b32 v2, 0xffe, v3, v2
	v_med3_i32 v3, v7, 0, 13
	v_or_b32_e32 v7, 0x1000, v2
	v_lshrrev_b32_e32 v8, v3, v7
	v_lshlrev_b32_e32 v3, v3, v8
	v_cmp_ne_u32_e32 vcc_lo, v3, v7
	v_lshl_or_b32 v7, v6, 12, v2
	v_cndmask_b32_e64 v3, 0, 1, vcc_lo
	v_cmp_gt_i32_e32 vcc_lo, 1, v6
	v_or_b32_e32 v3, v8, v3
	v_cndmask_b32_e32 v3, v7, v3, vcc_lo
	v_and_b32_e32 v7, 7, v3
	v_lshrrev_b32_e32 v3, 2, v3
	v_cmp_lt_i32_e32 vcc_lo, 5, v7
	v_cndmask_b32_e64 v8, 0, 1, vcc_lo
	v_cmp_eq_u32_e32 vcc_lo, 3, v7
	v_cndmask_b32_e64 v7, 0, 1, vcc_lo
	v_cmp_ne_u32_e32 vcc_lo, 0, v2
	v_or_b32_e32 v7, v7, v8
	v_mov_b32_e32 v8, 0x7e00
	v_add_nc_u32_e32 v3, v3, v7
	v_cndmask_b32_e32 v2, 0x7c00, v8, vcc_lo
	v_cmp_gt_i32_e32 vcc_lo, 31, v6
	v_cndmask_b32_e32 v3, 0x7c00, v3, vcc_lo
	v_cmp_eq_u32_e32 vcc_lo, 0x40f, v6
	v_cndmask_b32_e32 v2, v3, v2, vcc_lo
	v_lshrrev_b32_e32 v3, 16, v1
	v_and_or_b32 v2, 0x8000, v3, v2
	global_store_short v[4:5], v2, off
.LBB9_832:
	s_mov_b32 s23, 0
.LBB9_833:
	s_andn2_b32 vcc_lo, exec_lo, s23
	s_cbranch_vccnz .LBB9_849
; %bb.834:
	s_cmp_lt_i32 s22, 2
	s_mov_b32 s23, -1
	s_cbranch_scc1 .LBB9_844
; %bb.835:
	s_cmp_lt_i32 s22, 3
	s_cbranch_scc1 .LBB9_841
; %bb.836:
	s_cmp_gt_i32 s22, 3
	s_cbranch_scc0 .LBB9_838
; %bb.837:
	v_trunc_f64_e32 v[2:3], v[0:1]
	s_mov_b32 s23, 0
	v_ldexp_f64 v[6:7], v[2:3], 0xffffffe0
	v_floor_f64_e32 v[6:7], v[6:7]
	v_fma_f64 v[2:3], 0xc1f00000, v[6:7], v[2:3]
	v_cvt_i32_f64_e32 v7, v[6:7]
	v_cvt_u32_f64_e32 v6, v[2:3]
	global_store_dwordx2 v[4:5], v[6:7], off
.LBB9_838:
	s_andn2_b32 vcc_lo, exec_lo, s23
	s_cbranch_vccnz .LBB9_840
; %bb.839:
	v_cvt_i32_f64_e32 v2, v[0:1]
	global_store_dword v[4:5], v2, off
.LBB9_840:
	s_mov_b32 s23, 0
.LBB9_841:
	s_andn2_b32 vcc_lo, exec_lo, s23
	s_cbranch_vccnz .LBB9_843
; %bb.842:
	v_cvt_i32_f64_e32 v2, v[0:1]
	global_store_short v[4:5], v2, off
.LBB9_843:
	s_mov_b32 s23, 0
.LBB9_844:
	s_andn2_b32 vcc_lo, exec_lo, s23
	s_cbranch_vccnz .LBB9_849
; %bb.845:
	s_cmp_gt_i32 s22, 0
	s_mov_b32 s22, -1
	s_cbranch_scc0 .LBB9_847
; %bb.846:
	v_cvt_i32_f64_e32 v2, v[0:1]
	s_mov_b32 s22, 0
	global_store_byte v[4:5], v2, off
.LBB9_847:
	s_andn2_b32 vcc_lo, exec_lo, s22
	s_cbranch_vccnz .LBB9_849
; %bb.848:
	v_trunc_f64_e32 v[0:1], v[0:1]
	v_ldexp_f64 v[2:3], v[0:1], 0xffffffe0
	v_floor_f64_e32 v[2:3], v[2:3]
	v_fma_f64 v[0:1], 0xc1f00000, v[2:3], v[0:1]
	v_cvt_u32_f64_e32 v0, v[0:1]
	global_store_byte v[4:5], v0, off
.LBB9_849:
	s_mov_b32 s43, -1
.LBB9_850:
	s_andn2_b32 vcc_lo, exec_lo, s43
	s_cbranch_vccnz .LBB9_852
; %bb.851:
	v_add_nc_u32_e32 v11, 0x80, v11
	s_mov_b32 s43, -1
	s_branch .LBB9_854
.LBB9_852:
	s_mov_b32 s43, 0
.LBB9_853:
                                        ; implicit-def: $vgpr11
.LBB9_854:
	s_andn2_b32 s22, s40, exec_lo
	s_and_b32 s0, s0, exec_lo
	s_andn2_b32 s44, s39, exec_lo
	s_and_b32 s1, s1, exec_lo
	s_or_b32 s23, s22, s0
	s_or_b32 s22, s44, s1
	s_orn2_b32 s44, s43, exec_lo
.LBB9_855:
	s_or_b32 exec_lo, exec_lo, s42
	s_mov_b32 s0, 0
	s_mov_b32 s1, 0
	;; [unrolled: 1-line block ×3, first 2 shown]
                                        ; implicit-def: $vgpr0_vgpr1
                                        ; implicit-def: $vgpr2
                                        ; implicit-def: $vgpr3_vgpr4
	s_and_saveexec_b32 s42, s44
	s_cbranch_execz .LBB9_955
; %bb.856:
	v_cmp_gt_i32_e32 vcc_lo, s33, v11
	s_mov_b32 s45, s22
	s_mov_b32 s44, 0
                                        ; implicit-def: $vgpr0_vgpr1
                                        ; implicit-def: $vgpr2
                                        ; implicit-def: $vgpr3_vgpr4
	s_and_saveexec_b32 s33, vcc_lo
	s_cbranch_execz .LBB9_954
; %bb.857:
	s_andn2_b32 vcc_lo, exec_lo, s27
	s_cbranch_vccnz .LBB9_862
; %bb.858:
	s_andn2_b32 vcc_lo, exec_lo, s34
	s_cbranch_vccnz .LBB9_863
; %bb.859:
	s_add_i32 s35, s35, 1
	s_cmp_eq_u32 s25, 2
	s_cbranch_scc1 .LBB9_864
; %bb.860:
	v_mov_b32_e32 v0, 0
	v_mov_b32_e32 v2, 0
	v_mov_b32_e32 v1, v11
	s_and_b32 s34, s35, 28
	s_mov_b64 s[0:1], s[2:3]
.LBB9_861:                              ; =>This Inner Loop Header: Depth=1
	s_clause 0x1
	s_load_dwordx8 s[44:51], s[0:1], 0x4
	s_load_dwordx4 s[60:63], s[0:1], 0x24
	s_load_dwordx8 s[52:59], s[20:21], 0x0
	s_add_u32 s0, s0, 48
	s_addc_u32 s1, s1, 0
	s_add_i32 s43, s43, 4
	s_add_u32 s20, s20, 32
	s_addc_u32 s21, s21, 0
	s_cmp_eq_u32 s34, s43
	s_waitcnt vmcnt(0) lgkmcnt(0)
	v_mul_hi_u32 v3, s45, v1
	v_add_nc_u32_e32 v3, v1, v3
	v_lshrrev_b32_e32 v3, s46, v3
	v_mul_hi_u32 v4, s48, v3
	v_mul_lo_u32 v6, v3, s44
	v_add_nc_u32_e32 v4, v3, v4
	v_sub_nc_u32_e32 v1, v1, v6
	v_lshrrev_b32_e32 v4, s49, v4
	v_mul_lo_u32 v6, v1, s52
	v_mul_lo_u32 v8, v1, s53
	v_mul_hi_u32 v5, s51, v4
	v_add_nc_u32_e32 v5, v4, v5
	v_lshrrev_b32_e32 v5, s60, v5
	v_mul_hi_u32 v7, s62, v5
	v_mul_lo_u32 v9, v5, s50
	v_add_nc_u32_e32 v1, v5, v7
	v_mul_lo_u32 v7, v4, s47
	v_sub_nc_u32_e32 v4, v4, v9
	v_lshrrev_b32_e32 v1, s63, v1
	v_mul_lo_u32 v9, v4, s56
	v_mul_lo_u32 v4, v4, s57
	v_sub_nc_u32_e32 v3, v3, v7
	v_mul_lo_u32 v10, v1, s61
	v_mul_lo_u32 v7, v3, s54
	;; [unrolled: 1-line block ×3, first 2 shown]
	v_sub_nc_u32_e32 v5, v5, v10
	v_add3_u32 v2, v6, v2, v7
	v_mul_lo_u32 v10, v5, s58
	v_mul_lo_u32 v5, v5, s59
	v_add3_u32 v0, v8, v0, v3
	v_add3_u32 v2, v9, v2, v10
	;; [unrolled: 1-line block ×3, first 2 shown]
	s_cbranch_scc0 .LBB9_861
	s_branch .LBB9_865
.LBB9_862:
	s_mov_b32 s0, -1
                                        ; implicit-def: $vgpr2
                                        ; implicit-def: $vgpr0
	s_branch .LBB9_869
.LBB9_863:
	v_mov_b32_e32 v2, 0
	v_mov_b32_e32 v0, 0
	s_branch .LBB9_868
.LBB9_864:
	v_mov_b32_e32 v2, 0
	v_mov_b32_e32 v0, 0
	;; [unrolled: 1-line block ×3, first 2 shown]
	s_mov_b32 s34, 0
.LBB9_865:
	s_and_b32 s35, s35, 3
	s_cmp_eq_u32 s35, 0
	s_cbranch_scc1 .LBB9_868
; %bb.866:
	s_lshl_b32 s0, s34, 3
	s_mul_i32 s20, s34, 12
	s_add_u32 s0, s2, s0
	s_addc_u32 s1, s3, 0
	s_add_u32 s0, s0, 0xc4
	s_addc_u32 s1, s1, 0
	;; [unrolled: 2-line block ×3, first 2 shown]
.LBB9_867:                              ; =>This Inner Loop Header: Depth=1
	s_clause 0x1
	s_load_dwordx2 s[44:45], s[20:21], 0x4
	s_load_dword s34, s[20:21], 0xc
	s_load_dwordx2 s[46:47], s[0:1], 0x0
	s_add_u32 s20, s20, 12
	s_addc_u32 s21, s21, 0
	s_add_u32 s0, s0, 8
	s_addc_u32 s1, s1, 0
	s_add_i32 s35, s35, -1
	s_cmp_lg_u32 s35, 0
	s_waitcnt vmcnt(0) lgkmcnt(0)
	v_mul_hi_u32 v3, s45, v1
	v_add_nc_u32_e32 v3, v1, v3
	v_lshrrev_b32_e32 v4, s34, v3
	v_mul_lo_u32 v3, v4, s44
	v_sub_nc_u32_e32 v1, v1, v3
	v_mad_u64_u32 v[2:3], null, v1, s46, v[2:3]
	v_mad_u64_u32 v[0:1], null, v1, s47, v[0:1]
	v_mov_b32_e32 v1, v4
	s_cbranch_scc1 .LBB9_867
.LBB9_868:
	s_mov_b32 s0, 0
.LBB9_869:
	s_andn2_b32 vcc_lo, exec_lo, s0
	s_cbranch_vccnz .LBB9_872
; %bb.870:
	s_waitcnt lgkmcnt(0)
	v_mul_hi_u32 v0, s17, v11
	s_andn2_b32 vcc_lo, exec_lo, s31
	v_add_nc_u32_e32 v0, v11, v0
	v_lshrrev_b32_e32 v1, s18, v0
	v_mul_lo_u32 v0, v1, s16
	v_sub_nc_u32_e32 v0, v11, v0
	v_mul_lo_u32 v2, v0, s12
	v_mul_lo_u32 v0, v0, s13
	s_cbranch_vccnz .LBB9_872
; %bb.871:
	s_waitcnt vmcnt(0)
	v_mul_hi_u32 v3, s6, v1
	v_add_nc_u32_e32 v3, v1, v3
	v_lshrrev_b32_e32 v3, s7, v3
	v_mul_lo_u32 v3, v3, s19
	v_sub_nc_u32_e32 v1, v1, v3
	v_mad_u64_u32 v[2:3], null, v1, s14, v[2:3]
	v_mad_u64_u32 v[0:1], null, v1, s15, v[0:1]
.LBB9_872:
	s_waitcnt lgkmcnt(0)
	v_add_co_u32 v0, s0, s10, v0
	v_add_co_ci_u32_e64 v1, null, s11, 0, s0
	s_and_b32 s0, 0xffff, s30
	s_cmp_lt_i32 s0, 11
	s_cbranch_scc1 .LBB9_879
; %bb.873:
	s_cmp_gt_i32 s0, 25
	s_mov_b32 s6, 0
	s_cbranch_scc0 .LBB9_880
; %bb.874:
	s_cmp_gt_i32 s0, 28
	s_cbranch_scc0 .LBB9_881
; %bb.875:
	s_cmp_gt_i32 s0, 43
	s_cbranch_scc0 .LBB9_882
; %bb.876:
	s_cmp_gt_i32 s0, 45
	s_cbranch_scc0 .LBB9_885
; %bb.877:
	s_cmp_eq_u32 s0, 46
	s_mov_b32 s10, 0
	s_cbranch_scc0 .LBB9_888
; %bb.878:
	global_load_dword v3, v[0:1], off
	s_mov_b32 s1, 0
	s_mov_b32 s7, -1
	s_waitcnt vmcnt(0)
	v_lshlrev_b32_e32 v3, 16, v3
	v_cvt_f64_f32_e32 v[3:4], v3
	s_branch .LBB9_890
.LBB9_879:
	s_mov_b32 s0, -1
	s_mov_b32 s7, 0
	s_mov_b32 s6, 0
	;; [unrolled: 1-line block ×3, first 2 shown]
                                        ; implicit-def: $vgpr3_vgpr4
	s_branch .LBB9_953
.LBB9_880:
	s_mov_b32 s10, -1
	s_mov_b32 s7, 0
	s_mov_b32 s1, s22
                                        ; implicit-def: $vgpr3_vgpr4
	s_branch .LBB9_921
.LBB9_881:
	s_mov_b32 s10, -1
	s_mov_b32 s7, 0
	s_mov_b32 s1, s22
                                        ; implicit-def: $vgpr3_vgpr4
	s_branch .LBB9_900
.LBB9_882:
	s_mov_b32 s10, -1
	s_mov_b32 s7, 0
	s_mov_b32 s1, s22
                                        ; implicit-def: $vgpr3_vgpr4
	s_branch .LBB9_895
.LBB9_883:
	s_andn2_saveexec_b32 s45, s45
	s_cbranch_execz .LBB9_763
.LBB9_884:
	v_add_f32_e64 v3, 0x46000000, |v2|
	s_andn2_b32 s44, s44, exec_lo
	v_and_b32_e32 v3, 0xff, v3
	v_cmp_ne_u32_e32 vcc_lo, 0, v3
	s_and_b32 s46, vcc_lo, exec_lo
	s_or_b32 s44, s44, s46
	s_or_b32 exec_lo, exec_lo, s45
	v_mov_b32_e32 v6, 0
	s_and_saveexec_b32 s45, s44
	s_cbranch_execnz .LBB9_764
	s_branch .LBB9_765
.LBB9_885:
	s_mov_b32 s10, -1
	s_mov_b32 s7, 0
	s_mov_b32 s1, s22
	s_branch .LBB9_889
.LBB9_886:
	s_andn2_saveexec_b32 s45, s45
	s_cbranch_execz .LBB9_776
.LBB9_887:
	v_add_f32_e64 v3, 0x42800000, |v2|
	s_andn2_b32 s44, s44, exec_lo
	v_and_b32_e32 v3, 0xff, v3
	v_cmp_ne_u32_e32 vcc_lo, 0, v3
	s_and_b32 s46, vcc_lo, exec_lo
	s_or_b32 s44, s44, s46
	s_or_b32 exec_lo, exec_lo, s45
	v_mov_b32_e32 v6, 0
	s_and_saveexec_b32 s45, s44
	s_cbranch_execnz .LBB9_777
	s_branch .LBB9_778
.LBB9_888:
	s_mov_b32 s1, -1
	s_mov_b32 s7, 0
.LBB9_889:
                                        ; implicit-def: $vgpr3_vgpr4
.LBB9_890:
	s_and_b32 vcc_lo, exec_lo, s10
	s_cbranch_vccz .LBB9_894
; %bb.891:
	s_cmp_eq_u32 s0, 44
	s_cbranch_scc0 .LBB9_893
; %bb.892:
	global_load_ubyte v5, v[0:1], off
	s_mov_b32 s1, 0
	s_mov_b32 s7, -1
	s_waitcnt vmcnt(0)
	v_lshlrev_b32_e32 v3, 23, v5
	v_cmp_ne_u32_e32 vcc_lo, 0xff, v5
	v_cvt_f64_f32_e32 v[3:4], v3
	v_cndmask_b32_e32 v3, 0x20000000, v3, vcc_lo
	v_cndmask_b32_e32 v4, 0x7ff80000, v4, vcc_lo
	v_cmp_ne_u32_e32 vcc_lo, 0, v5
	v_cndmask_b32_e32 v4, 0x38000000, v4, vcc_lo
	v_cndmask_b32_e32 v3, 0, v3, vcc_lo
	s_branch .LBB9_894
.LBB9_893:
	s_mov_b32 s1, -1
                                        ; implicit-def: $vgpr3_vgpr4
.LBB9_894:
	s_mov_b32 s10, 0
.LBB9_895:
	s_and_b32 vcc_lo, exec_lo, s10
	s_cbranch_vccz .LBB9_899
; %bb.896:
	s_cmp_eq_u32 s0, 29
	s_cbranch_scc0 .LBB9_898
; %bb.897:
	global_load_dwordx2 v[3:4], v[0:1], off
	s_mov_b32 s1, 0
	s_mov_b32 s7, -1
	s_mov_b32 s10, 0
	s_waitcnt vmcnt(0)
	v_cvt_f64_u32_e32 v[4:5], v4
	v_cvt_f64_u32_e32 v[6:7], v3
	v_ldexp_f64 v[4:5], v[4:5], 32
	v_add_f64 v[3:4], v[4:5], v[6:7]
	s_branch .LBB9_900
.LBB9_898:
	s_mov_b32 s1, -1
                                        ; implicit-def: $vgpr3_vgpr4
.LBB9_899:
	s_mov_b32 s10, 0
.LBB9_900:
	s_and_b32 vcc_lo, exec_lo, s10
	s_cbranch_vccz .LBB9_920
; %bb.901:
	s_cmp_lt_i32 s0, 27
	s_cbranch_scc1 .LBB9_904
; %bb.902:
	s_cmp_gt_i32 s0, 27
	s_cbranch_scc0 .LBB9_905
; %bb.903:
	global_load_dword v3, v[0:1], off
	s_mov_b32 s7, 0
	s_waitcnt vmcnt(0)
	v_cvt_f64_u32_e32 v[3:4], v3
	s_branch .LBB9_906
.LBB9_904:
	s_mov_b32 s7, -1
                                        ; implicit-def: $vgpr3_vgpr4
	s_branch .LBB9_909
.LBB9_905:
	s_mov_b32 s7, -1
                                        ; implicit-def: $vgpr3_vgpr4
.LBB9_906:
	s_andn2_b32 vcc_lo, exec_lo, s7
	s_cbranch_vccnz .LBB9_908
; %bb.907:
	global_load_ushort v3, v[0:1], off
	s_waitcnt vmcnt(0)
	v_cvt_f64_u32_e32 v[3:4], v3
.LBB9_908:
	s_mov_b32 s7, 0
.LBB9_909:
	s_andn2_b32 vcc_lo, exec_lo, s7
	s_cbranch_vccnz .LBB9_919
; %bb.910:
	global_load_ubyte v5, v[0:1], off
	s_mov_b32 s7, 0
	s_mov_b32 s10, exec_lo
	s_waitcnt vmcnt(0)
	v_cmpx_lt_i16_e32 0x7f, v5
	s_xor_b32 s10, exec_lo, s10
	s_cbranch_execz .LBB9_914
; %bb.911:
	s_mov_b32 s7, -1
	s_mov_b32 s11, exec_lo
	v_cmpx_eq_u16_e32 0x80, v5
; %bb.912:
	s_xor_b32 s7, exec_lo, -1
; %bb.913:
	s_or_b32 exec_lo, exec_lo, s11
	s_and_b32 s7, s7, exec_lo
.LBB9_914:
	s_or_saveexec_b32 s10, s10
	v_bfrev_b32_e32 v3, 4
	v_mov_b32_e32 v4, 0x7ff80000
	s_xor_b32 exec_lo, exec_lo, s10
; %bb.915:
	v_cmp_ne_u16_e32 vcc_lo, 0, v5
	v_mov_b32_e32 v3, 0
	v_mov_b32_e32 v4, 0
	s_andn2_b32 s7, s7, exec_lo
	s_and_b32 s11, vcc_lo, exec_lo
	s_or_b32 s7, s7, s11
; %bb.916:
	s_or_b32 exec_lo, exec_lo, s10
	s_and_saveexec_b32 s10, s7
	s_cbranch_execz .LBB9_918
; %bb.917:
	v_and_b32_e32 v3, 0xffff, v5
	v_lshlrev_b32_e32 v5, 24, v5
	v_and_b32_e32 v4, 7, v3
	v_bfe_u32 v8, v3, 3, 4
	v_ffbh_u32_e32 v6, v4
	v_cmp_eq_u32_e32 vcc_lo, 0, v8
	v_min_u32_e32 v6, 32, v6
	v_subrev_nc_u32_e32 v7, 28, v6
	v_sub_nc_u32_e32 v6, 29, v6
	v_lshlrev_b32_e32 v3, v7, v3
	v_cndmask_b32_e32 v6, v8, v6, vcc_lo
	v_and_b32_e32 v3, 7, v3
	v_cndmask_b32_e32 v3, v4, v3, vcc_lo
	v_and_b32_e32 v4, 0x80000000, v5
	v_lshl_add_u32 v5, v6, 23, 0x3b800000
	v_lshlrev_b32_e32 v3, 20, v3
	v_or3_b32 v3, v4, v5, v3
	v_cvt_f64_f32_e32 v[3:4], v3
.LBB9_918:
	s_or_b32 exec_lo, exec_lo, s10
.LBB9_919:
	s_mov_b32 s7, -1
.LBB9_920:
	s_mov_b32 s10, 0
.LBB9_921:
	s_and_b32 vcc_lo, exec_lo, s10
	s_cbranch_vccz .LBB9_952
; %bb.922:
	s_cmp_gt_i32 s0, 22
	s_cbranch_scc0 .LBB9_934
; %bb.923:
	s_cmp_lt_i32 s0, 24
	s_cbranch_scc1 .LBB9_935
; %bb.924:
	s_cmp_gt_i32 s0, 24
	s_cbranch_scc0 .LBB9_936
; %bb.925:
	global_load_ubyte v5, v[0:1], off
	s_mov_b32 s7, exec_lo
	s_waitcnt vmcnt(0)
	v_cmpx_lt_i16_e32 0x7f, v5
	s_xor_b32 s7, exec_lo, s7
	s_cbranch_execz .LBB9_929
; %bb.926:
	s_mov_b32 s6, -1
	s_mov_b32 s10, exec_lo
	v_cmpx_eq_u16_e32 0x80, v5
; %bb.927:
	s_xor_b32 s6, exec_lo, -1
; %bb.928:
	s_or_b32 exec_lo, exec_lo, s10
	s_and_b32 s6, s6, exec_lo
.LBB9_929:
	s_or_saveexec_b32 s7, s7
	v_bfrev_b32_e32 v3, 4
	v_mov_b32_e32 v4, 0x7ff80000
	s_xor_b32 exec_lo, exec_lo, s7
; %bb.930:
	v_cmp_ne_u16_e32 vcc_lo, 0, v5
	v_mov_b32_e32 v3, 0
	v_mov_b32_e32 v4, 0
	s_andn2_b32 s6, s6, exec_lo
	s_and_b32 s10, vcc_lo, exec_lo
	s_or_b32 s6, s6, s10
; %bb.931:
	s_or_b32 exec_lo, exec_lo, s7
	s_and_saveexec_b32 s7, s6
	s_cbranch_execz .LBB9_933
; %bb.932:
	v_and_b32_e32 v3, 0xffff, v5
	v_lshlrev_b32_e32 v5, 24, v5
	v_and_b32_e32 v4, 3, v3
	v_bfe_u32 v8, v3, 2, 5
	v_ffbh_u32_e32 v6, v4
	v_cmp_eq_u32_e32 vcc_lo, 0, v8
	v_min_u32_e32 v6, 32, v6
	v_subrev_nc_u32_e32 v7, 29, v6
	v_sub_nc_u32_e32 v6, 30, v6
	v_lshlrev_b32_e32 v3, v7, v3
	v_cndmask_b32_e32 v6, v8, v6, vcc_lo
	v_and_b32_e32 v3, 3, v3
	v_cndmask_b32_e32 v3, v4, v3, vcc_lo
	v_and_b32_e32 v4, 0x80000000, v5
	v_lshl_add_u32 v5, v6, 23, 0x37800000
	v_lshlrev_b32_e32 v3, 21, v3
	v_or3_b32 v3, v4, v5, v3
	v_cvt_f64_f32_e32 v[3:4], v3
.LBB9_933:
	s_or_b32 exec_lo, exec_lo, s7
	s_mov_b32 s6, 0
	s_branch .LBB9_937
.LBB9_934:
	s_mov_b32 s6, -1
                                        ; implicit-def: $vgpr3_vgpr4
	s_branch .LBB9_943
.LBB9_935:
	s_mov_b32 s6, -1
                                        ; implicit-def: $vgpr3_vgpr4
	s_branch .LBB9_940
.LBB9_936:
	s_mov_b32 s6, -1
                                        ; implicit-def: $vgpr3_vgpr4
.LBB9_937:
	s_and_b32 vcc_lo, exec_lo, s6
	s_cbranch_vccz .LBB9_939
; %bb.938:
	global_load_ubyte v3, v[0:1], off
	s_waitcnt vmcnt(0)
	v_lshlrev_b32_e32 v3, 24, v3
	v_and_b32_e32 v4, 0x7f000000, v3
	v_ffbh_u32_e32 v5, v4
	v_add_nc_u32_e32 v7, 0x1000000, v4
	v_cmp_ne_u32_e32 vcc_lo, 0, v4
	v_min_u32_e32 v5, 32, v5
	v_sub_nc_u32_e64 v5, v5, 4 clamp
	v_lshlrev_b32_e32 v6, v5, v4
	v_lshlrev_b32_e32 v5, 23, v5
	v_lshrrev_b32_e32 v6, 4, v6
	v_sub_nc_u32_e32 v5, v6, v5
	v_ashrrev_i32_e32 v6, 8, v7
	v_add_nc_u32_e32 v5, 0x3c000000, v5
	v_and_or_b32 v5, 0x7f800000, v6, v5
	v_cndmask_b32_e32 v4, 0, v5, vcc_lo
	v_and_or_b32 v3, 0x80000000, v3, v4
	v_cvt_f64_f32_e32 v[3:4], v3
.LBB9_939:
	s_mov_b32 s6, 0
.LBB9_940:
	s_andn2_b32 vcc_lo, exec_lo, s6
	s_cbranch_vccnz .LBB9_942
; %bb.941:
	global_load_ubyte v3, v[0:1], off
	s_waitcnt vmcnt(0)
	v_lshlrev_b32_e32 v4, 25, v3
	v_lshlrev_b16 v3, 8, v3
	v_lshrrev_b32_e32 v5, 4, v4
	v_and_or_b32 v6, 0x7f00, v3, 0.5
	v_cmp_gt_u32_e32 vcc_lo, 0x8000000, v4
	v_bfe_i32 v3, v3, 0, 16
	v_or_b32_e32 v5, 0x70000000, v5
	v_add_f32_e32 v6, -0.5, v6
	v_mul_f32_e32 v5, 0x7800000, v5
	v_cndmask_b32_e32 v4, v5, v6, vcc_lo
	v_and_or_b32 v3, 0x80000000, v3, v4
	v_cvt_f64_f32_e32 v[3:4], v3
.LBB9_942:
	s_mov_b32 s6, 0
	s_mov_b32 s7, -1
.LBB9_943:
	s_andn2_b32 vcc_lo, exec_lo, s6
	s_mov_b32 s6, 0
	s_cbranch_vccnz .LBB9_952
; %bb.944:
	s_cmp_gt_i32 s0, 14
	s_cbranch_scc0 .LBB9_947
; %bb.945:
	s_cmp_eq_u32 s0, 15
	s_cbranch_scc0 .LBB9_948
; %bb.946:
	global_load_ushort v3, v[0:1], off
	s_mov_b32 s1, 0
	s_mov_b32 s7, -1
	s_waitcnt vmcnt(0)
	v_lshlrev_b32_e32 v3, 16, v3
	v_cvt_f64_f32_e32 v[3:4], v3
	s_branch .LBB9_950
.LBB9_947:
	s_mov_b32 s6, -1
	s_branch .LBB9_949
.LBB9_948:
	s_mov_b32 s1, -1
.LBB9_949:
                                        ; implicit-def: $vgpr3_vgpr4
.LBB9_950:
	s_and_b32 vcc_lo, exec_lo, s6
	s_mov_b32 s6, 0
	s_cbranch_vccz .LBB9_952
; %bb.951:
	s_cmp_lg_u32 s0, 11
	s_mov_b32 s6, -1
	s_cselect_b32 s0, -1, 0
	s_andn2_b32 s1, s1, exec_lo
	s_and_b32 s0, s0, exec_lo
	s_or_b32 s1, s1, s0
.LBB9_952:
	s_mov_b32 s0, 0
.LBB9_953:
	s_and_b32 s43, s7, exec_lo
	s_andn2_b32 s7, s22, exec_lo
	s_and_b32 s1, s1, exec_lo
	s_and_b32 s44, s0, exec_lo
	;; [unrolled: 1-line block ×3, first 2 shown]
	s_or_b32 s45, s7, s1
.LBB9_954:
	s_or_b32 exec_lo, exec_lo, s33
	s_waitcnt lgkmcnt(0)
	s_andn2_b32 s6, s22, exec_lo
	s_and_b32 s7, s45, exec_lo
	s_and_b32 s43, s43, exec_lo
	;; [unrolled: 1-line block ×4, first 2 shown]
	s_or_b32 s22, s6, s7
.LBB9_955:
	s_or_b32 exec_lo, exec_lo, s42
	s_waitcnt lgkmcnt(0)
	s_andn2_b32 s6, s40, exec_lo
	s_and_b32 s7, s23, exec_lo
	s_and_b32 s42, s43, exec_lo
	s_or_b32 s40, s6, s7
	s_andn2_b32 s6, s39, exec_lo
	s_and_b32 s7, s22, exec_lo
	s_and_b32 s23, s1, exec_lo
	;; [unrolled: 1-line block ×3, first 2 shown]
	s_or_b32 s39, s6, s7
.LBB9_956:
	s_or_b32 exec_lo, exec_lo, s41
	s_andn2_b32 s0, s36, exec_lo
	s_waitcnt lgkmcnt(0)
	s_and_b32 s6, s40, exec_lo
	s_and_b32 s7, s39, exec_lo
	s_or_b32 s36, s0, s6
	s_andn2_b32 s6, s37, exec_lo
	s_and_b32 s0, s42, exec_lo
	s_and_b32 s22, s23, exec_lo
	;; [unrolled: 1-line block ×3, first 2 shown]
	s_or_b32 s37, s6, s7
	s_or_b32 exec_lo, exec_lo, s38
	s_mov_b32 s1, 0
	s_and_saveexec_b32 s6, s37
	s_cbranch_execz .LBB9_286
.LBB9_957:
	s_mov_b32 s1, exec_lo
	s_andn2_b32 s39, s39, exec_lo
	s_trap 2
	s_or_b32 exec_lo, exec_lo, s6
	s_and_saveexec_b32 s6, s39
	s_xor_b32 s6, exec_lo, s6
	s_cbranch_execnz .LBB9_287
.LBB9_958:
	s_or_b32 exec_lo, exec_lo, s6
	s_and_saveexec_b32 s6, s22
	s_cbranch_execz .LBB9_1004
.LBB9_959:
	s_sext_i32_i16 s7, s30
	s_cmp_lt_i32 s7, 5
	s_cbranch_scc1 .LBB9_964
; %bb.960:
	s_cmp_lt_i32 s7, 8
	s_cbranch_scc1 .LBB9_965
; %bb.961:
	s_cmp_lt_i32 s7, 9
	s_cbranch_scc1 .LBB9_966
; %bb.962:
	s_cmp_gt_i32 s7, 9
	s_cbranch_scc0 .LBB9_967
; %bb.963:
	global_load_dwordx2 v[3:4], v[0:1], off
	s_mov_b32 s7, 0
	s_branch .LBB9_968
.LBB9_964:
                                        ; implicit-def: $vgpr3_vgpr4
	s_branch .LBB9_985
.LBB9_965:
                                        ; implicit-def: $vgpr3_vgpr4
	s_branch .LBB9_974
.LBB9_966:
	s_mov_b32 s7, -1
                                        ; implicit-def: $vgpr3_vgpr4
	s_branch .LBB9_971
.LBB9_967:
	s_mov_b32 s7, -1
                                        ; implicit-def: $vgpr3_vgpr4
.LBB9_968:
	s_andn2_b32 vcc_lo, exec_lo, s7
	s_cbranch_vccnz .LBB9_970
; %bb.969:
	global_load_dword v3, v[0:1], off
	s_waitcnt vmcnt(0)
	v_cvt_f64_f32_e32 v[3:4], v3
.LBB9_970:
	s_mov_b32 s7, 0
.LBB9_971:
	s_andn2_b32 vcc_lo, exec_lo, s7
	s_cbranch_vccnz .LBB9_973
; %bb.972:
	global_load_dword v3, v[0:1], off
	s_waitcnt vmcnt(0)
	v_cvt_f32_f16_e32 v3, v3
	v_cvt_f64_f32_e32 v[3:4], v3
.LBB9_973:
	s_cbranch_execnz .LBB9_984
.LBB9_974:
	s_sext_i32_i16 s7, s30
	s_cmp_lt_i32 s7, 6
	s_cbranch_scc1 .LBB9_977
; %bb.975:
	s_cmp_gt_i32 s7, 6
	s_cbranch_scc0 .LBB9_978
; %bb.976:
	global_load_dwordx2 v[3:4], v[0:1], off
	s_mov_b32 s7, 0
	s_branch .LBB9_979
.LBB9_977:
	s_mov_b32 s7, -1
                                        ; implicit-def: $vgpr3_vgpr4
	s_branch .LBB9_982
.LBB9_978:
	s_mov_b32 s7, -1
                                        ; implicit-def: $vgpr3_vgpr4
.LBB9_979:
	s_andn2_b32 vcc_lo, exec_lo, s7
	s_cbranch_vccnz .LBB9_981
; %bb.980:
	global_load_dword v3, v[0:1], off
	s_waitcnt vmcnt(0)
	v_cvt_f64_f32_e32 v[3:4], v3
.LBB9_981:
	s_mov_b32 s7, 0
.LBB9_982:
	s_andn2_b32 vcc_lo, exec_lo, s7
	s_cbranch_vccnz .LBB9_984
; %bb.983:
	global_load_ushort v3, v[0:1], off
	s_waitcnt vmcnt(0)
	v_cvt_f32_f16_e32 v3, v3
	v_cvt_f64_f32_e32 v[3:4], v3
.LBB9_984:
	s_cbranch_execnz .LBB9_1003
.LBB9_985:
	s_sext_i32_i16 s7, s30
	s_cmp_lt_i32 s7, 2
	s_cbranch_scc1 .LBB9_989
; %bb.986:
	s_cmp_lt_i32 s7, 3
	s_cbranch_scc1 .LBB9_990
; %bb.987:
	s_cmp_gt_i32 s7, 3
	s_cbranch_scc0 .LBB9_991
; %bb.988:
	global_load_dwordx2 v[3:4], v[0:1], off
	s_mov_b32 s7, 0
	s_waitcnt vmcnt(0)
	v_cvt_f64_i32_e32 v[4:5], v4
	v_cvt_f64_u32_e32 v[6:7], v3
	v_ldexp_f64 v[4:5], v[4:5], 32
	v_add_f64 v[3:4], v[4:5], v[6:7]
	s_branch .LBB9_992
.LBB9_989:
                                        ; implicit-def: $vgpr3_vgpr4
	s_branch .LBB9_998
.LBB9_990:
	s_mov_b32 s7, -1
                                        ; implicit-def: $vgpr3_vgpr4
	s_branch .LBB9_995
.LBB9_991:
	s_mov_b32 s7, -1
                                        ; implicit-def: $vgpr3_vgpr4
.LBB9_992:
	s_andn2_b32 vcc_lo, exec_lo, s7
	s_cbranch_vccnz .LBB9_994
; %bb.993:
	global_load_dword v3, v[0:1], off
	s_waitcnt vmcnt(0)
	v_cvt_f64_i32_e32 v[3:4], v3
.LBB9_994:
	s_mov_b32 s7, 0
.LBB9_995:
	s_andn2_b32 vcc_lo, exec_lo, s7
	s_cbranch_vccnz .LBB9_997
; %bb.996:
	global_load_sshort v3, v[0:1], off
	s_waitcnt vmcnt(0)
	v_cvt_f64_i32_e32 v[3:4], v3
.LBB9_997:
	s_cbranch_execnz .LBB9_1003
.LBB9_998:
	s_sext_i32_i16 s7, s30
	s_cmp_gt_i32 s7, 0
	s_mov_b32 s7, 0
	s_cbranch_scc0 .LBB9_1000
; %bb.999:
	global_load_sbyte v3, v[0:1], off
	s_waitcnt vmcnt(0)
	v_cvt_f64_i32_e32 v[3:4], v3
	s_branch .LBB9_1001
.LBB9_1000:
	s_mov_b32 s7, -1
                                        ; implicit-def: $vgpr3_vgpr4
.LBB9_1001:
	s_andn2_b32 vcc_lo, exec_lo, s7
	s_cbranch_vccnz .LBB9_1003
; %bb.1002:
	global_load_ubyte v0, v[0:1], off
	s_waitcnt vmcnt(0)
	v_cvt_f64_u32_e32 v[3:4], v0
.LBB9_1003:
	s_or_b32 s0, s0, exec_lo
.LBB9_1004:
	s_or_b32 exec_lo, exec_lo, s6
	s_mov_b32 s11, 0
	s_mov_b32 s10, 0
                                        ; implicit-def: $sgpr7
                                        ; implicit-def: $vgpr5_vgpr6
                                        ; implicit-def: $vgpr0_vgpr1
	s_and_saveexec_b32 s6, s0
	s_cbranch_execz .LBB9_1024
; %bb.1005:
	s_waitcnt vmcnt(0)
	v_cmp_ge_f64_e64 s0, 0x40200000, |v[3:4]|
                                        ; implicit-def: $vgpr0_vgpr1
	s_and_saveexec_b32 s7, s0
	s_xor_b32 s0, exec_lo, s7
	s_cbranch_execz .LBB9_1011
; %bb.1006:
	v_fma_f64 v[0:1], |v[3:4]|, 0.5, -2.0
	s_mov_b32 s10, 0xc38a0576
	s_mov_b32 s11, 0xbc7857d0
	s_mov_b32 s13, 0x3c499f2a
	s_mov_b32 s12, 0xc3c4014
	s_mov_b32 s7, exec_lo
	v_fma_f64 v[5:6], v[0:1], s[12:13], s[10:11]
	s_mov_b32 s13, 0xbc499f2a
	s_mov_b32 s10, 0xe593bfac
	;; [unrolled: 1-line block ×3, first 2 shown]
	v_fma_f64 v[7:8], v[0:1], v[5:6], s[12:13]
	s_mov_b32 s12, 0x3b39803f
	s_mov_b32 s13, 0xbc7abc9e
	v_add_f64 v[7:8], v[7:8], s[10:11]
	s_mov_b32 s10, 0x7e0d1573
	s_mov_b32 s11, 0xbcd3eaaa
	v_fma_f64 v[5:6], v[0:1], v[7:8], -v[5:6]
	v_add_f64 v[5:6], v[5:6], s[10:11]
	s_mov_b32 s10, 0x615290c
	s_mov_b32 s11, 0x3d011d7f
	v_fma_f64 v[7:8], v[0:1], v[5:6], -v[7:8]
	;; [unrolled: 4-line block ×20, first 2 shown]
	v_add_f64 v[7:8], v[7:8], s[10:11]
	s_mov_b32 s10, 0x652b82fe
	s_mov_b32 s11, 0x3ff71547
	v_mul_f64 v[9:10], |v[3:4]|, s[10:11]
	s_mov_b32 s10, 0x7913a26a
	s_mov_b32 s11, 0xbf85a29f
	v_fma_f64 v[5:6], v[0:1], v[7:8], -v[5:6]
	v_rndne_f64_e32 v[9:10], v[9:10]
	v_add_f64 v[5:6], v[5:6], s[10:11]
	s_mov_b32 s10, 0xfefa39ef
	s_mov_b32 s11, 0xbfe62e42
	v_fma_f64 v[11:12], v[9:10], s[10:11], |v[3:4]|
	s_mov_b32 s10, 0xe7bb2349
	s_mov_b32 s11, 0x3f9951e3
	v_fma_f64 v[7:8], v[0:1], v[5:6], -v[7:8]
	v_fma_f64 v[11:12], v[9:10], s[12:13], v[11:12]
	s_mov_b32 s12, 0x6a5dcb37
	s_mov_b32 s13, 0x3e5ade15
	v_cvt_i32_f64_e32 v9, v[9:10]
	v_add_f64 v[7:8], v[7:8], s[10:11]
	s_mov_b32 s10, 0xfca7ab0c
	s_mov_b32 s11, 0x3e928af3
	v_fma_f64 v[13:14], v[11:12], s[12:13], s[10:11]
	s_mov_b32 s10, 0x537c9ebc
	s_mov_b32 s12, 0x623fde64
	;; [unrolled: 1-line block ×4, first 2 shown]
	v_fma_f64 v[5:6], v[0:1], v[7:8], -v[5:6]
	v_fma_f64 v[13:14], v[11:12], v[13:14], s[12:13]
	s_mov_b32 s12, 0x14761f6e
	s_mov_b32 s13, 0x3f2a01a0
	v_add_f64 v[5:6], v[5:6], s[10:11]
	s_mov_b32 s10, 0x7c89e6b0
	s_mov_b32 s11, 0x3efa0199
	v_fma_f64 v[13:14], v[11:12], v[13:14], s[10:11]
	s_mov_b32 s10, 0xd536f53c
	s_mov_b32 s11, 0x3fba46da
	v_fma_f64 v[7:8], v[0:1], v[5:6], -v[7:8]
	v_fma_f64 v[13:14], v[11:12], v[13:14], s[12:13]
	s_mov_b32 s12, 0x11122322
	s_mov_b32 s13, 0x3f811111
	v_add_f64 v[7:8], v[7:8], s[10:11]
	s_mov_b32 s10, 0x1852b7b0
	s_mov_b32 s11, 0x3f56c16c
	v_fma_f64 v[13:14], v[11:12], v[13:14], s[10:11]
	s_mov_b32 s10, 0x469192e
	s_mov_b32 s11, 0xbfc694d1
	;; [unrolled: 10-line block ×3, first 2 shown]
	v_fma_f64 v[0:1], v[0:1], v[5:6], -v[7:8]
	v_fma_f64 v[5:6], v[11:12], v[13:14], s[12:13]
	v_add_f64 v[0:1], v[0:1], s[10:11]
	s_mov_b32 s10, 11
	s_mov_b32 s11, 0x3fe00000
	v_fma_f64 v[5:6], v[11:12], v[5:6], s[10:11]
	v_add_f64 v[0:1], v[0:1], -v[7:8]
	v_fma_f64 v[5:6], v[11:12], v[5:6], 1.0
	v_mul_f64 v[0:1], v[0:1], 0.5
	v_fma_f64 v[7:8], v[11:12], v[5:6], 1.0
	v_mul_f64 v[5:6], |v[3:4]|, v[0:1]
                                        ; implicit-def: $vgpr0_vgpr1
	v_cmpx_ngt_f64_e32 0, v[3:4]
	s_xor_b32 s7, exec_lo, s7
	s_cbranch_execz .LBB9_1008
; %bb.1007:
	v_ldexp_f64 v[0:1], v[7:8], v9
	v_cmp_nlt_f64_e64 vcc_lo, 0x40900000, |v[3:4]|
                                        ; implicit-def: $vgpr7_vgpr8
                                        ; implicit-def: $vgpr9
                                        ; implicit-def: $vgpr3_vgpr4
	v_cndmask_b32_e32 v1, 0x7ff00000, v1, vcc_lo
	v_cndmask_b32_e32 v0, 0, v0, vcc_lo
	v_mul_f64 v[0:1], v[0:1], v[5:6]
                                        ; implicit-def: $vgpr5_vgpr6
.LBB9_1008:
	s_andn2_saveexec_b32 s7, s7
	s_cbranch_execz .LBB9_1010
; %bb.1009:
	v_ldexp_f64 v[0:1], -v[7:8], v9
	v_cmp_nlt_f64_e64 vcc_lo, 0x40900000, |v[3:4]|
	v_cndmask_b32_e32 v1, 0xfff00000, v1, vcc_lo
	v_cndmask_b32_e32 v0, 0, v0, vcc_lo
	v_mul_f64 v[0:1], v[0:1], v[5:6]
.LBB9_1010:
	s_or_b32 exec_lo, exec_lo, s7
                                        ; implicit-def: $vgpr3_vgpr4
.LBB9_1011:
	s_andn2_saveexec_b32 s7, s0
	s_cbranch_execz .LBB9_1017
; %bb.1012:
	v_and_b32_e32 v1, 0x7fffffff, v4
	v_mov_b32_e32 v0, v3
	s_mov_b32 s10, 0xea87b950
	s_mov_b32 s11, 0x3c545b8a
	;; [unrolled: 1-line block ×4, first 2 shown]
	v_div_scale_f64 v[5:6], null, v[0:1], v[0:1], 0x40400000
	v_div_scale_f64 v[0:1], vcc_lo, 0x40400000, v[0:1], 0x40400000
	v_cmp_ngt_f64_e64 s0, 0, v[3:4]
	v_rcp_f64_e32 v[7:8], v[5:6]
	v_fma_f64 v[9:10], -v[5:6], v[7:8], 1.0
	v_fma_f64 v[7:8], v[7:8], v[9:10], v[7:8]
	v_fma_f64 v[9:10], -v[5:6], v[7:8], 1.0
	v_fma_f64 v[7:8], v[7:8], v[9:10], v[7:8]
	v_mul_f64 v[9:10], v[0:1], v[7:8]
	v_fma_f64 v[0:1], -v[5:6], v[9:10], v[0:1]
	v_div_fmas_f64 v[0:1], v[0:1], v[7:8], v[9:10]
	v_cmp_nlt_f64_e64 vcc_lo, 0x40900000, |v[3:4]|
	v_div_fixup_f64 v[0:1], v[0:1], |v[3:4]|, 0x40400000
	v_add_f64 v[0:1], v[0:1], -2.0
	v_fma_f64 v[5:6], v[0:1], s[12:13], s[10:11]
	s_mov_b32 s13, 0xbc61556d
	s_mov_b32 s10, 0xb2532277
	;; [unrolled: 1-line block ×3, first 2 shown]
	v_fma_f64 v[7:8], v[0:1], v[5:6], s[12:13]
	s_mov_b32 s12, 0x6a5dcb37
	s_mov_b32 s13, 0x3e5ade15
	v_add_f64 v[7:8], v[7:8], s[10:11]
	s_mov_b32 s10, 0x9c773320
	s_mov_b32 s11, 0xbc82806c
	v_fma_f64 v[5:6], v[0:1], v[7:8], -v[5:6]
	v_add_f64 v[5:6], v[5:6], s[10:11]
	s_mov_b32 s10, 0xfceb588a
	s_mov_b32 s11, 0x3cb55915
	v_fma_f64 v[7:8], v[0:1], v[5:6], -v[7:8]
	;; [unrolled: 4-line block ×14, first 2 shown]
	v_add_f64 v[7:8], v[7:8], s[10:11]
	s_mov_b32 s10, 0x652b82fe
	s_mov_b32 s11, 0x3ff71547
	v_mul_f64 v[9:10], |v[3:4]|, s[10:11]
	s_mov_b32 s10, 0x5423dd80
	s_mov_b32 s11, 0xbe0334ca
	v_fma_f64 v[5:6], v[0:1], v[7:8], -v[5:6]
	v_rndne_f64_e32 v[9:10], v[9:10]
	v_add_f64 v[5:6], v[5:6], s[10:11]
	s_mov_b32 s10, 0xfefa39ef
	s_mov_b32 s11, 0xbfe62e42
	v_fma_f64 v[11:12], v[9:10], s[10:11], |v[3:4]|
	s_mov_b32 s10, 0x9ad53528
	s_mov_b32 s11, 0xbe30790b
	v_fma_f64 v[7:8], v[0:1], v[5:6], -v[7:8]
	v_add_f64 v[7:8], v[7:8], s[10:11]
	s_mov_b32 s10, 0x3b39803f
	s_mov_b32 s11, 0xbc7abc9e
	v_fma_f64 v[11:12], v[9:10], s[10:11], v[11:12]
	s_mov_b32 s10, 0xfca7ab0c
	s_mov_b32 s11, 0x3e928af3
	v_cvt_i32_f64_e32 v9, v[9:10]
	v_fma_f64 v[5:6], v[0:1], v[7:8], -v[5:6]
	v_fma_f64 v[13:14], v[11:12], s[12:13], s[10:11]
	s_mov_b32 s10, 0x94bb46c1
	s_mov_b32 s11, 0xbe5c4153
	v_add_f64 v[5:6], v[5:6], s[10:11]
	s_mov_b32 s10, 0x623fde64
	s_mov_b32 s11, 0x3ec71dee
	v_fma_f64 v[13:14], v[11:12], v[13:14], s[10:11]
	s_mov_b32 s10, 0x7c89e6b0
	s_mov_b32 s11, 0x3efa0199
	v_fma_f64 v[7:8], v[0:1], v[5:6], -v[7:8]
	v_fma_f64 v[13:14], v[11:12], v[13:14], s[10:11]
	s_mov_b32 s10, 0x2e9e5443
	s_mov_b32 s11, 0xbe90dbfd
	v_add_f64 v[7:8], v[7:8], s[10:11]
	s_mov_b32 s10, 0x14761f6e
	s_mov_b32 s11, 0x3f2a01a0
	v_fma_f64 v[13:14], v[11:12], v[13:14], s[10:11]
	s_mov_b32 s10, 0x1852b7b0
	s_mov_b32 s11, 0x3f56c16c
	v_fma_f64 v[5:6], v[0:1], v[7:8], -v[5:6]
	v_fma_f64 v[13:14], v[11:12], v[13:14], s[10:11]
	s_mov_b32 s10, 0x49ca0373
	s_mov_b32 s11, 0xbed048df
	v_add_f64 v[5:6], v[5:6], s[10:11]
	s_mov_b32 s10, 0x11122322
	s_mov_b32 s11, 0x3f811111
	v_fma_f64 v[13:14], v[11:12], v[13:14], s[10:11]
	s_mov_b32 s10, 0x555502a1
	s_mov_b32 s11, 0x3fa55555
	v_fma_f64 v[7:8], v[0:1], v[5:6], -v[7:8]
	v_fma_f64 v[13:14], v[11:12], v[13:14], s[10:11]
	s_mov_b32 s10, 0x804aa9a6
	s_mov_b32 s11, 0xbf1cfd7f
	v_add_f64 v[7:8], v[7:8], s[10:11]
	s_mov_b32 s10, 0x55555511
	s_mov_b32 s11, 0x3fc55555
	v_fma_f64 v[13:14], v[11:12], v[13:14], s[10:11]
	s_mov_b32 s10, 11
	s_mov_b32 s11, 0x3fe00000
	v_fma_f64 v[5:6], v[0:1], v[7:8], -v[5:6]
	v_fma_f64 v[13:14], v[11:12], v[13:14], s[10:11]
	s_mov_b32 s10, 0x53fcdb4c
	s_mov_b32 s11, 0xbf83fda0
	v_add_f64 v[5:6], v[5:6], s[10:11]
	s_mov_b32 s10, 0xb55b1514
	s_mov_b32 s11, 0x3fe8ea18
	v_fma_f64 v[13:14], v[11:12], v[13:14], 1.0
	v_fma_f64 v[0:1], v[0:1], v[5:6], -v[7:8]
	v_fma_f64 v[5:6], v[11:12], v[13:14], 1.0
	v_add_f64 v[0:1], v[0:1], s[10:11]
	v_ldexp_f64 v[5:6], v[5:6], v9
	v_add_f64 v[7:8], v[0:1], -v[7:8]
                                        ; implicit-def: $vgpr0_vgpr1
	v_cndmask_b32_e32 v6, 0x7ff00000, v6, vcc_lo
	v_cndmask_b32_e32 v5, 0, v5, vcc_lo
	s_and_saveexec_b32 s10, s0
	s_xor_b32 s0, exec_lo, s10
	s_cbranch_execz .LBB9_1014
; %bb.1013:
	v_cmp_gt_f64_e64 s10, 0x10000000, |v[3:4]|
	v_mul_f64 v[7:8], v[7:8], 0.5
	v_cndmask_b32_e64 v0, 0, 0x100, s10
	v_mul_f64 v[5:6], v[5:6], v[7:8]
	v_ldexp_f64 v[0:1], |v[3:4]|, v0
	v_rsq_f64_e32 v[3:4], v[0:1]
	v_cmp_class_f64_e64 vcc_lo, v[0:1], 0x260
	v_mul_f64 v[9:10], v[0:1], v[3:4]
	v_mul_f64 v[3:4], v[3:4], 0.5
	v_fma_f64 v[11:12], -v[3:4], v[9:10], 0.5
	v_fma_f64 v[9:10], v[9:10], v[11:12], v[9:10]
	v_fma_f64 v[3:4], v[3:4], v[11:12], v[3:4]
	v_fma_f64 v[11:12], -v[9:10], v[9:10], v[0:1]
	v_fma_f64 v[9:10], v[11:12], v[3:4], v[9:10]
	v_fma_f64 v[11:12], -v[9:10], v[9:10], v[0:1]
	v_fma_f64 v[3:4], v[11:12], v[3:4], v[9:10]
	v_cndmask_b32_e64 v9, 0, 0xffffff80, s10
	v_ldexp_f64 v[3:4], v[3:4], v9
	v_cndmask_b32_e32 v1, v4, v1, vcc_lo
	v_cndmask_b32_e32 v0, v3, v0, vcc_lo
	v_div_scale_f64 v[3:4], null, v[0:1], v[0:1], v[5:6]
	v_rcp_f64_e32 v[7:8], v[3:4]
	v_fma_f64 v[9:10], -v[3:4], v[7:8], 1.0
	v_fma_f64 v[7:8], v[7:8], v[9:10], v[7:8]
	v_fma_f64 v[9:10], -v[3:4], v[7:8], 1.0
	v_fma_f64 v[7:8], v[7:8], v[9:10], v[7:8]
	v_div_scale_f64 v[9:10], vcc_lo, v[5:6], v[0:1], v[5:6]
	v_mul_f64 v[11:12], v[9:10], v[7:8]
	v_fma_f64 v[3:4], -v[3:4], v[11:12], v[9:10]
	v_div_fmas_f64 v[3:4], v[3:4], v[7:8], v[11:12]
                                        ; implicit-def: $vgpr7_vgpr8
	v_div_fixup_f64 v[0:1], v[3:4], v[0:1], v[5:6]
                                        ; implicit-def: $vgpr3_vgpr4
                                        ; implicit-def: $vgpr5_vgpr6
.LBB9_1014:
	s_andn2_saveexec_b32 s0, s0
	s_cbranch_execz .LBB9_1016
; %bb.1015:
	v_cmp_gt_f64_e64 s10, 0x10000000, |v[3:4]|
	v_mul_f64 v[7:8], v[7:8], -0.5
	v_cndmask_b32_e64 v0, 0, 0x100, s10
	v_mul_f64 v[5:6], v[5:6], v[7:8]
	v_ldexp_f64 v[0:1], |v[3:4]|, v0
	v_rsq_f64_e32 v[3:4], v[0:1]
	v_cmp_class_f64_e64 vcc_lo, v[0:1], 0x260
	v_mul_f64 v[9:10], v[0:1], v[3:4]
	v_mul_f64 v[3:4], v[3:4], 0.5
	v_fma_f64 v[11:12], -v[3:4], v[9:10], 0.5
	v_fma_f64 v[9:10], v[9:10], v[11:12], v[9:10]
	v_fma_f64 v[3:4], v[3:4], v[11:12], v[3:4]
	v_fma_f64 v[11:12], -v[9:10], v[9:10], v[0:1]
	v_fma_f64 v[9:10], v[11:12], v[3:4], v[9:10]
	v_fma_f64 v[11:12], -v[9:10], v[9:10], v[0:1]
	v_fma_f64 v[3:4], v[11:12], v[3:4], v[9:10]
	v_cndmask_b32_e64 v9, 0, 0xffffff80, s10
	v_ldexp_f64 v[3:4], v[3:4], v9
	v_cndmask_b32_e32 v1, v4, v1, vcc_lo
	v_cndmask_b32_e32 v0, v3, v0, vcc_lo
	v_div_scale_f64 v[3:4], null, v[0:1], v[0:1], v[5:6]
	v_rcp_f64_e32 v[7:8], v[3:4]
	v_fma_f64 v[9:10], -v[3:4], v[7:8], 1.0
	v_fma_f64 v[7:8], v[7:8], v[9:10], v[7:8]
	v_fma_f64 v[9:10], -v[3:4], v[7:8], 1.0
	v_fma_f64 v[7:8], v[7:8], v[9:10], v[7:8]
	v_div_scale_f64 v[9:10], vcc_lo, v[5:6], v[0:1], v[5:6]
	v_mul_f64 v[11:12], v[9:10], v[7:8]
	v_fma_f64 v[3:4], -v[3:4], v[11:12], v[9:10]
	v_div_fmas_f64 v[3:4], v[3:4], v[7:8], v[11:12]
	v_div_fixup_f64 v[0:1], v[3:4], v[0:1], v[5:6]
.LBB9_1016:
	s_or_b32 exec_lo, exec_lo, s0
.LBB9_1017:
	s_or_b32 exec_lo, exec_lo, s7
	v_add_co_u32 v5, s0, s8, v2
	v_add_co_ci_u32_e64 v6, null, s9, 0, s0
	s_and_b32 s7, s29, 0xff
	s_cmp_lt_i32 s7, 11
	s_cbranch_scc1 .LBB9_1027
; %bb.1018:
	s_and_b32 s8, 0xffff, s7
	s_mov_b32 s9, -1
	s_cmp_gt_i32 s8, 25
	s_mov_b32 s0, s36
	s_cbranch_scc0 .LBB9_1055
; %bb.1019:
	s_cmp_gt_i32 s8, 28
	s_mov_b32 s0, s36
	s_cbranch_scc0 .LBB9_1039
; %bb.1020:
	;; [unrolled: 4-line block ×4, first 2 shown]
	s_cmp_eq_u32 s8, 46
	s_mov_b32 s0, -1
	s_cbranch_scc0 .LBB9_1028
; %bb.1023:
	v_cvt_f32_f64_e32 v2, v[0:1]
	s_mov_b32 s0, 0
	s_mov_b32 s9, 0
	v_bfe_u32 v3, v2, 16, 1
	v_cmp_o_f32_e32 vcc_lo, v2, v2
	v_add3_u32 v2, v2, v3, 0x7fff
	v_mov_b32_e32 v3, 0x7fc0
	v_cndmask_b32_sdwa v2, v3, v2, vcc_lo dst_sel:DWORD dst_unused:UNUSED_PAD src0_sel:DWORD src1_sel:WORD_1
	global_store_dword v[5:6], v2, off
	s_branch .LBB9_1029
.LBB9_1024:
	s_or_b32 exec_lo, exec_lo, s6
	s_and_saveexec_b32 s0, s36
	s_cbranch_execnz .LBB9_1097
.LBB9_1025:
	s_or_b32 exec_lo, exec_lo, s0
	s_and_saveexec_b32 s0, s11
	s_xor_b32 s0, exec_lo, s0
	s_cbranch_execz .LBB9_1098
.LBB9_1026:
	v_cmp_neq_f64_e32 vcc_lo, 0, v[0:1]
	v_cndmask_b32_e64 v2, 0, 1, vcc_lo
	global_store_byte v[5:6], v2, off
	s_or_b32 exec_lo, exec_lo, s0
	s_and_saveexec_b32 s0, s10
	s_xor_b32 s0, exec_lo, s0
	s_cbranch_execz .LBB9_1136
	s_branch .LBB9_1099
.LBB9_1027:
	s_mov_b32 s11, 0
	s_mov_b32 s9, -1
	s_mov_b32 s0, s36
	s_branch .LBB9_1096
.LBB9_1028:
	s_mov_b32 s9, 0
.LBB9_1029:
	s_and_b32 vcc_lo, exec_lo, s9
	s_cbranch_vccz .LBB9_1034
; %bb.1030:
	s_cmp_eq_u32 s8, 44
	s_mov_b32 s0, -1
	s_cbranch_scc0 .LBB9_1034
; %bb.1031:
	v_cvt_f32_f64_e32 v2, v[0:1]
	v_mov_b32_e32 v3, 0xff
	s_mov_b32 s9, exec_lo
	v_bfe_u32 v4, v2, 23, 8
	v_cmpx_ne_u32_e32 0xff, v4
	s_cbranch_execz .LBB9_1033
; %bb.1032:
	v_and_b32_e32 v3, 0x400000, v2
	v_and_or_b32 v4, 0x3fffff, v2, v4
	v_lshrrev_b32_e32 v2, 23, v2
	v_cmp_ne_u32_e32 vcc_lo, 0, v3
	v_cmp_ne_u32_e64 s0, 0, v4
	s_and_b32 s0, vcc_lo, s0
	v_cndmask_b32_e64 v3, 0, 1, s0
	v_add_nc_u32_e32 v3, v2, v3
.LBB9_1033:
	s_or_b32 exec_lo, exec_lo, s9
	s_mov_b32 s0, 0
	global_store_byte v[5:6], v3, off
.LBB9_1034:
	s_mov_b32 s9, 0
.LBB9_1035:
	s_and_b32 vcc_lo, exec_lo, s9
	s_cbranch_vccz .LBB9_1038
; %bb.1036:
	s_cmp_eq_u32 s8, 29
	s_mov_b32 s0, -1
	s_cbranch_scc0 .LBB9_1038
; %bb.1037:
	v_trunc_f64_e32 v[2:3], v[0:1]
	s_mov_b32 s0, 0
	s_mov_b32 s9, 0
	v_ldexp_f64 v[7:8], v[2:3], 0xffffffe0
	v_floor_f64_e32 v[7:8], v[7:8]
	v_fma_f64 v[2:3], 0xc1f00000, v[7:8], v[2:3]
	v_cvt_u32_f64_e32 v4, v[7:8]
	v_cvt_u32_f64_e32 v3, v[2:3]
	global_store_dwordx2 v[5:6], v[3:4], off
	s_branch .LBB9_1039
.LBB9_1038:
	s_mov_b32 s9, 0
.LBB9_1039:
	s_and_b32 vcc_lo, exec_lo, s9
	s_cbranch_vccz .LBB9_1054
; %bb.1040:
	s_cmp_lt_i32 s8, 27
	s_mov_b32 s9, -1
	s_cbranch_scc1 .LBB9_1046
; %bb.1041:
	s_cmp_gt_i32 s8, 27
	s_cbranch_scc0 .LBB9_1043
; %bb.1042:
	v_cvt_u32_f64_e32 v2, v[0:1]
	s_mov_b32 s9, 0
	global_store_dword v[5:6], v2, off
.LBB9_1043:
	s_andn2_b32 vcc_lo, exec_lo, s9
	s_cbranch_vccnz .LBB9_1045
; %bb.1044:
	v_cvt_u32_f64_e32 v2, v[0:1]
	global_store_short v[5:6], v2, off
.LBB9_1045:
	s_mov_b32 s9, 0
.LBB9_1046:
	s_andn2_b32 vcc_lo, exec_lo, s9
	s_cbranch_vccnz .LBB9_1054
; %bb.1047:
	v_cvt_f32_f64_e32 v2, v[0:1]
	v_mov_b32_e32 v4, 0x80
	s_mov_b32 s9, exec_lo
	v_and_b32_e32 v3, 0x7fffffff, v2
	v_cmpx_gt_u32_e32 0x43800000, v3
	s_cbranch_execz .LBB9_1053
; %bb.1048:
	v_cmp_lt_u32_e32 vcc_lo, 0x3bffffff, v3
	s_mov_b32 s10, 0
                                        ; implicit-def: $vgpr3
	s_and_saveexec_b32 s11, vcc_lo
	s_xor_b32 s11, exec_lo, s11
	s_cbranch_execz .LBB9_1207
; %bb.1049:
	v_bfe_u32 v3, v2, 20, 1
	s_mov_b32 s10, exec_lo
	v_add3_u32 v3, v2, v3, 0x487ffff
	v_lshrrev_b32_e32 v3, 20, v3
	s_andn2_saveexec_b32 s11, s11
	s_cbranch_execnz .LBB9_1208
.LBB9_1050:
	s_or_b32 exec_lo, exec_lo, s11
	v_mov_b32_e32 v4, 0
	s_and_saveexec_b32 s11, s10
.LBB9_1051:
	v_lshrrev_b32_e32 v2, 24, v2
	v_and_or_b32 v4, 0x80, v2, v3
.LBB9_1052:
	s_or_b32 exec_lo, exec_lo, s11
.LBB9_1053:
	s_or_b32 exec_lo, exec_lo, s9
	global_store_byte v[5:6], v4, off
.LBB9_1054:
	s_mov_b32 s9, 0
.LBB9_1055:
	s_and_b32 vcc_lo, exec_lo, s9
	s_mov_b32 s9, 0
	s_cbranch_vccz .LBB9_1095
; %bb.1056:
	s_cmp_gt_i32 s8, 22
	s_mov_b32 s10, -1
	s_cbranch_scc0 .LBB9_1088
; %bb.1057:
	s_cmp_lt_i32 s8, 24
	s_cbranch_scc1 .LBB9_1077
; %bb.1058:
	s_cmp_gt_i32 s8, 24
	s_cbranch_scc0 .LBB9_1066
; %bb.1059:
	v_cvt_f32_f64_e32 v2, v[0:1]
	v_mov_b32_e32 v4, 0x80
	s_mov_b32 s10, exec_lo
	v_and_b32_e32 v3, 0x7fffffff, v2
	v_cmpx_gt_u32_e32 0x47800000, v3
	s_cbranch_execz .LBB9_1065
; %bb.1060:
	v_cmp_lt_u32_e32 vcc_lo, 0x37ffffff, v3
	s_mov_b32 s11, 0
                                        ; implicit-def: $vgpr3
	s_and_saveexec_b32 s12, vcc_lo
	s_xor_b32 s12, exec_lo, s12
	s_cbranch_execz .LBB9_1345
; %bb.1061:
	v_bfe_u32 v3, v2, 21, 1
	s_mov_b32 s11, exec_lo
	v_add3_u32 v3, v2, v3, 0x88fffff
	v_lshrrev_b32_e32 v3, 21, v3
	s_andn2_saveexec_b32 s12, s12
	s_cbranch_execnz .LBB9_1346
.LBB9_1062:
	s_or_b32 exec_lo, exec_lo, s12
	v_mov_b32_e32 v4, 0
	s_and_saveexec_b32 s12, s11
.LBB9_1063:
	v_lshrrev_b32_e32 v2, 24, v2
	v_and_or_b32 v4, 0x80, v2, v3
.LBB9_1064:
	s_or_b32 exec_lo, exec_lo, s12
.LBB9_1065:
	s_or_b32 exec_lo, exec_lo, s10
	s_mov_b32 s10, 0
	global_store_byte v[5:6], v4, off
.LBB9_1066:
	s_and_b32 vcc_lo, exec_lo, s10
	s_cbranch_vccz .LBB9_1076
; %bb.1067:
	v_cvt_f32_f64_e32 v2, v[0:1]
	s_mov_b32 s10, exec_lo
                                        ; implicit-def: $vgpr3
	v_and_b32_e32 v4, 0x7fffffff, v2
	v_cmpx_gt_u32_e32 0x43f00000, v4
	s_xor_b32 s10, exec_lo, s10
	s_cbranch_execz .LBB9_1073
; %bb.1068:
	s_mov_b32 s11, exec_lo
                                        ; implicit-def: $vgpr3
	v_cmpx_lt_u32_e32 0x3c7fffff, v4
	s_xor_b32 s11, exec_lo, s11
; %bb.1069:
	v_bfe_u32 v3, v2, 20, 1
	v_add3_u32 v3, v2, v3, 0x407ffff
	v_and_b32_e32 v4, 0xff00000, v3
	v_lshrrev_b32_e32 v3, 20, v3
	v_cmp_ne_u32_e32 vcc_lo, 0x7f00000, v4
	v_cndmask_b32_e32 v3, 0x7e, v3, vcc_lo
; %bb.1070:
	s_andn2_saveexec_b32 s11, s11
; %bb.1071:
	v_add_f32_e64 v3, 0x46800000, |v2|
; %bb.1072:
	s_or_b32 exec_lo, exec_lo, s11
                                        ; implicit-def: $vgpr4
.LBB9_1073:
	s_andn2_saveexec_b32 s10, s10
; %bb.1074:
	v_mov_b32_e32 v3, 0x7f
	v_cmp_lt_u32_e32 vcc_lo, 0x7f800000, v4
	v_cndmask_b32_e32 v3, 0x7e, v3, vcc_lo
; %bb.1075:
	s_or_b32 exec_lo, exec_lo, s10
	v_lshrrev_b32_e32 v2, 24, v2
	v_and_or_b32 v2, 0x80, v2, v3
	global_store_byte v[5:6], v2, off
.LBB9_1076:
	s_mov_b32 s10, 0
.LBB9_1077:
	s_andn2_b32 vcc_lo, exec_lo, s10
	s_cbranch_vccnz .LBB9_1087
; %bb.1078:
	v_cvt_f32_f64_e32 v2, v[0:1]
	s_mov_b32 s10, exec_lo
                                        ; implicit-def: $vgpr3
	v_and_b32_e32 v4, 0x7fffffff, v2
	v_cmpx_gt_u32_e32 0x47800000, v4
	s_xor_b32 s10, exec_lo, s10
	s_cbranch_execz .LBB9_1084
; %bb.1079:
	s_mov_b32 s11, exec_lo
                                        ; implicit-def: $vgpr3
	v_cmpx_lt_u32_e32 0x387fffff, v4
	s_xor_b32 s11, exec_lo, s11
; %bb.1080:
	v_bfe_u32 v3, v2, 21, 1
	v_add3_u32 v3, v2, v3, 0x80fffff
	v_lshrrev_b32_e32 v3, 21, v3
; %bb.1081:
	s_andn2_saveexec_b32 s11, s11
; %bb.1082:
	v_add_f32_e64 v3, 0x43000000, |v2|
; %bb.1083:
	s_or_b32 exec_lo, exec_lo, s11
                                        ; implicit-def: $vgpr4
.LBB9_1084:
	s_andn2_saveexec_b32 s10, s10
; %bb.1085:
	v_mov_b32_e32 v3, 0x7f
	v_cmp_lt_u32_e32 vcc_lo, 0x7f800000, v4
	v_cndmask_b32_e32 v3, 0x7c, v3, vcc_lo
; %bb.1086:
	s_or_b32 exec_lo, exec_lo, s10
	v_lshrrev_b32_e32 v2, 24, v2
	v_and_or_b32 v2, 0x80, v2, v3
	global_store_byte v[5:6], v2, off
.LBB9_1087:
	s_mov_b32 s10, 0
.LBB9_1088:
	s_andn2_b32 vcc_lo, exec_lo, s10
	s_mov_b32 s11, 0
	s_cbranch_vccnz .LBB9_1096
; %bb.1089:
	s_cmp_gt_i32 s8, 14
	s_mov_b32 s10, -1
	s_cbranch_scc0 .LBB9_1093
; %bb.1090:
	s_cmp_eq_u32 s8, 15
	s_mov_b32 s0, -1
	s_cbranch_scc0 .LBB9_1092
; %bb.1091:
	v_cvt_f32_f64_e32 v2, v[0:1]
	s_mov_b32 s0, 0
	v_bfe_u32 v3, v2, 16, 1
	v_cmp_o_f32_e32 vcc_lo, v2, v2
	v_add3_u32 v2, v2, v3, 0x7fff
	v_mov_b32_e32 v3, 0x7fc0
	v_cndmask_b32_sdwa v2, v3, v2, vcc_lo dst_sel:DWORD dst_unused:UNUSED_PAD src0_sel:DWORD src1_sel:WORD_1
	global_store_short v[5:6], v2, off
.LBB9_1092:
	s_mov_b32 s10, 0
.LBB9_1093:
	s_and_b32 vcc_lo, exec_lo, s10
	s_cbranch_vccz .LBB9_1096
; %bb.1094:
	s_cmp_lg_u32 s8, 11
	s_mov_b32 s11, -1
	s_cselect_b32 s8, -1, 0
	s_andn2_b32 s0, s0, exec_lo
	s_and_b32 s8, s8, exec_lo
	s_or_b32 s0, s0, s8
	s_branch .LBB9_1096
.LBB9_1095:
	s_mov_b32 s11, 0
.LBB9_1096:
	s_andn2_b32 s8, s36, exec_lo
	s_and_b32 s0, s0, exec_lo
	s_and_b32 s10, s9, exec_lo
	;; [unrolled: 1-line block ×3, first 2 shown]
	s_or_b32 s36, s8, s0
	s_or_b32 exec_lo, exec_lo, s6
	s_and_saveexec_b32 s0, s36
	s_cbranch_execz .LBB9_1025
.LBB9_1097:
	s_or_b32 s1, s1, exec_lo
	s_andn2_b32 s11, s11, exec_lo
	s_trap 2
	s_or_b32 exec_lo, exec_lo, s0
	s_and_saveexec_b32 s0, s11
	s_xor_b32 s0, exec_lo, s0
	s_cbranch_execnz .LBB9_1026
.LBB9_1098:
	s_or_b32 exec_lo, exec_lo, s0
	s_and_saveexec_b32 s0, s10
	s_xor_b32 s0, exec_lo, s0
	s_cbranch_execz .LBB9_1136
.LBB9_1099:
	s_sext_i32_i16 s8, s7
	s_mov_b32 s6, -1
	s_cmp_lt_i32 s8, 5
	s_cbranch_scc1 .LBB9_1120
; %bb.1100:
	s_cmp_lt_i32 s8, 8
	s_cbranch_scc1 .LBB9_1110
; %bb.1101:
	;; [unrolled: 3-line block ×3, first 2 shown]
	s_cmp_gt_i32 s8, 9
	s_cbranch_scc0 .LBB9_1104
; %bb.1103:
	v_mov_b32_e32 v2, 0
	s_mov_b32 s6, 0
	s_waitcnt vmcnt(0)
	v_mov_b32_e32 v3, v2
	global_store_dwordx4 v[5:6], v[0:3], off
.LBB9_1104:
	s_andn2_b32 vcc_lo, exec_lo, s6
	s_cbranch_vccnz .LBB9_1106
; %bb.1105:
	v_cvt_f32_f64_e32 v2, v[0:1]
	s_waitcnt vmcnt(0)
	v_mov_b32_e32 v3, 0
	global_store_dwordx2 v[5:6], v[2:3], off
.LBB9_1106:
	s_mov_b32 s6, 0
.LBB9_1107:
	s_andn2_b32 vcc_lo, exec_lo, s6
	s_cbranch_vccnz .LBB9_1109
; %bb.1108:
	v_and_or_b32 v2, 0x1ff, v1, v0
	s_waitcnt vmcnt(0)
	v_lshrrev_b32_e32 v3, 8, v1
	v_bfe_u32 v4, v1, 20, 11
	v_cmp_ne_u32_e32 vcc_lo, 0, v2
	v_sub_nc_u32_e32 v7, 0x3f1, v4
	v_add_nc_u32_e32 v4, 0xfffffc10, v4
	v_cndmask_b32_e64 v2, 0, 1, vcc_lo
	v_and_or_b32 v2, 0xffe, v3, v2
	v_med3_i32 v3, v7, 0, 13
	v_or_b32_e32 v7, 0x1000, v2
	v_lshrrev_b32_e32 v8, v3, v7
	v_lshlrev_b32_e32 v3, v3, v8
	v_cmp_ne_u32_e32 vcc_lo, v3, v7
	v_lshl_or_b32 v7, v4, 12, v2
	v_cndmask_b32_e64 v3, 0, 1, vcc_lo
	v_cmp_gt_i32_e32 vcc_lo, 1, v4
	v_or_b32_e32 v3, v8, v3
	v_cndmask_b32_e32 v3, v7, v3, vcc_lo
	v_and_b32_e32 v7, 7, v3
	v_lshrrev_b32_e32 v3, 2, v3
	v_cmp_lt_i32_e32 vcc_lo, 5, v7
	v_cndmask_b32_e64 v8, 0, 1, vcc_lo
	v_cmp_eq_u32_e32 vcc_lo, 3, v7
	v_cndmask_b32_e64 v7, 0, 1, vcc_lo
	v_cmp_ne_u32_e32 vcc_lo, 0, v2
	v_or_b32_e32 v7, v7, v8
	v_mov_b32_e32 v8, 0x7e00
	v_add_nc_u32_e32 v3, v3, v7
	v_cndmask_b32_e32 v2, 0x7c00, v8, vcc_lo
	v_cmp_gt_i32_e32 vcc_lo, 31, v4
	v_cndmask_b32_e32 v3, 0x7c00, v3, vcc_lo
	v_cmp_eq_u32_e32 vcc_lo, 0x40f, v4
	v_cndmask_b32_e32 v2, v3, v2, vcc_lo
	v_lshrrev_b32_e32 v3, 16, v1
	v_and_or_b32 v2, 0x8000, v3, v2
	v_and_b32_e32 v2, 0xffff, v2
	global_store_dword v[5:6], v2, off
.LBB9_1109:
	s_mov_b32 s6, 0
.LBB9_1110:
	s_andn2_b32 vcc_lo, exec_lo, s6
	s_cbranch_vccnz .LBB9_1119
; %bb.1111:
	s_sext_i32_i16 s8, s7
	s_mov_b32 s6, -1
	s_cmp_lt_i32 s8, 6
	s_cbranch_scc1 .LBB9_1117
; %bb.1112:
	s_cmp_gt_i32 s8, 6
	s_cbranch_scc0 .LBB9_1114
; %bb.1113:
	s_mov_b32 s6, 0
	global_store_dwordx2 v[5:6], v[0:1], off
.LBB9_1114:
	s_andn2_b32 vcc_lo, exec_lo, s6
	s_cbranch_vccnz .LBB9_1116
; %bb.1115:
	v_cvt_f32_f64_e32 v2, v[0:1]
	global_store_dword v[5:6], v2, off
.LBB9_1116:
	s_mov_b32 s6, 0
.LBB9_1117:
	s_andn2_b32 vcc_lo, exec_lo, s6
	s_cbranch_vccnz .LBB9_1119
; %bb.1118:
	v_and_or_b32 v2, 0x1ff, v1, v0
	s_waitcnt vmcnt(0)
	v_lshrrev_b32_e32 v3, 8, v1
	v_bfe_u32 v4, v1, 20, 11
	v_cmp_ne_u32_e32 vcc_lo, 0, v2
	v_sub_nc_u32_e32 v7, 0x3f1, v4
	v_add_nc_u32_e32 v4, 0xfffffc10, v4
	v_cndmask_b32_e64 v2, 0, 1, vcc_lo
	v_and_or_b32 v2, 0xffe, v3, v2
	v_med3_i32 v3, v7, 0, 13
	v_or_b32_e32 v7, 0x1000, v2
	v_lshrrev_b32_e32 v8, v3, v7
	v_lshlrev_b32_e32 v3, v3, v8
	v_cmp_ne_u32_e32 vcc_lo, v3, v7
	v_lshl_or_b32 v7, v4, 12, v2
	v_cndmask_b32_e64 v3, 0, 1, vcc_lo
	v_cmp_gt_i32_e32 vcc_lo, 1, v4
	v_or_b32_e32 v3, v8, v3
	v_cndmask_b32_e32 v3, v7, v3, vcc_lo
	v_and_b32_e32 v7, 7, v3
	v_lshrrev_b32_e32 v3, 2, v3
	v_cmp_lt_i32_e32 vcc_lo, 5, v7
	v_cndmask_b32_e64 v8, 0, 1, vcc_lo
	v_cmp_eq_u32_e32 vcc_lo, 3, v7
	v_cndmask_b32_e64 v7, 0, 1, vcc_lo
	v_cmp_ne_u32_e32 vcc_lo, 0, v2
	v_or_b32_e32 v7, v7, v8
	v_mov_b32_e32 v8, 0x7e00
	v_add_nc_u32_e32 v3, v3, v7
	v_cndmask_b32_e32 v2, 0x7c00, v8, vcc_lo
	v_cmp_gt_i32_e32 vcc_lo, 31, v4
	v_cndmask_b32_e32 v3, 0x7c00, v3, vcc_lo
	v_cmp_eq_u32_e32 vcc_lo, 0x40f, v4
	v_cndmask_b32_e32 v2, v3, v2, vcc_lo
	v_lshrrev_b32_e32 v3, 16, v1
	v_and_or_b32 v2, 0x8000, v3, v2
	global_store_short v[5:6], v2, off
.LBB9_1119:
	s_mov_b32 s6, 0
.LBB9_1120:
	s_andn2_b32 vcc_lo, exec_lo, s6
	s_cbranch_vccnz .LBB9_1136
; %bb.1121:
	s_sext_i32_i16 s8, s7
	s_mov_b32 s6, -1
	s_cmp_lt_i32 s8, 2
	s_cbranch_scc1 .LBB9_1131
; %bb.1122:
	s_cmp_lt_i32 s8, 3
	s_cbranch_scc1 .LBB9_1128
; %bb.1123:
	s_cmp_gt_i32 s8, 3
	s_cbranch_scc0 .LBB9_1125
; %bb.1124:
	s_waitcnt vmcnt(0)
	v_trunc_f64_e32 v[2:3], v[0:1]
	s_mov_b32 s6, 0
	v_ldexp_f64 v[7:8], v[2:3], 0xffffffe0
	v_floor_f64_e32 v[7:8], v[7:8]
	v_fma_f64 v[2:3], 0xc1f00000, v[7:8], v[2:3]
	v_cvt_i32_f64_e32 v4, v[7:8]
	v_cvt_u32_f64_e32 v3, v[2:3]
	global_store_dwordx2 v[5:6], v[3:4], off
.LBB9_1125:
	s_andn2_b32 vcc_lo, exec_lo, s6
	s_cbranch_vccnz .LBB9_1127
; %bb.1126:
	v_cvt_i32_f64_e32 v2, v[0:1]
	global_store_dword v[5:6], v2, off
.LBB9_1127:
	s_mov_b32 s6, 0
.LBB9_1128:
	s_andn2_b32 vcc_lo, exec_lo, s6
	s_cbranch_vccnz .LBB9_1130
; %bb.1129:
	v_cvt_i32_f64_e32 v2, v[0:1]
	global_store_short v[5:6], v2, off
.LBB9_1130:
	s_mov_b32 s6, 0
.LBB9_1131:
	s_andn2_b32 vcc_lo, exec_lo, s6
	s_cbranch_vccnz .LBB9_1136
; %bb.1132:
	s_sext_i32_i16 s6, s7
	s_cmp_gt_i32 s6, 0
	s_mov_b32 s6, -1
	s_cbranch_scc0 .LBB9_1134
; %bb.1133:
	v_cvt_i32_f64_e32 v2, v[0:1]
	s_mov_b32 s6, 0
	global_store_byte v[5:6], v2, off
.LBB9_1134:
	s_andn2_b32 vcc_lo, exec_lo, s6
	s_cbranch_vccnz .LBB9_1136
; %bb.1135:
	v_trunc_f64_e32 v[0:1], v[0:1]
	s_waitcnt vmcnt(0)
	v_ldexp_f64 v[2:3], v[0:1], 0xffffffe0
	v_floor_f64_e32 v[2:3], v[2:3]
	v_fma_f64 v[0:1], 0xc1f00000, v[2:3], v[0:1]
	v_cvt_u32_f64_e32 v0, v[0:1]
	global_store_byte v[5:6], v0, off
.LBB9_1136:
	s_or_b32 exec_lo, exec_lo, s0
	s_and_b32 s12, s1, exec_lo
                                        ; implicit-def: $vgpr5
                                        ; implicit-def: $vgpr11
.LBB9_1137:
	s_or_saveexec_b32 s13, s28
	s_mov_b32 s0, 0
                                        ; implicit-def: $vgpr0_vgpr1
                                        ; implicit-def: $sgpr6
                                        ; implicit-def: $vgpr12_vgpr13
	s_xor_b32 exec_lo, exec_lo, s13
	s_cbranch_execz .LBB9_1838
; %bb.1138:
	s_waitcnt vmcnt(0)
	v_cndmask_b32_e64 v4, 0, 1, s27
	s_andn2_b32 vcc_lo, exec_lo, s27
	s_cbranch_vccnz .LBB9_1144
; %bb.1139:
	s_cmp_lg_u32 s24, 0
	s_mov_b32 s8, 0
	s_cbranch_scc0 .LBB9_1145
; %bb.1140:
	s_min_u32 s10, s25, 15
	s_add_i32 s10, s10, 1
	s_cmp_eq_u32 s25, 2
	s_cbranch_scc1 .LBB9_1146
; %bb.1141:
	v_mov_b32_e32 v0, 0
	v_mov_b32_e32 v2, 0
	;; [unrolled: 1-line block ×3, first 2 shown]
	s_and_b32 s9, s10, 28
	s_add_u32 s0, s2, 0xc4
	s_addc_u32 s1, s3, 0
	s_mov_b32 s11, 0
	s_mov_b64 s[6:7], s[2:3]
.LBB9_1142:                             ; =>This Inner Loop Header: Depth=1
	s_clause 0x1
	s_load_dwordx8 s[16:23], s[6:7], 0x4
	s_load_dwordx4 s[28:31], s[6:7], 0x24
	s_load_dwordx8 s[36:43], s[0:1], 0x0
	s_add_u32 s6, s6, 48
	s_addc_u32 s7, s7, 0
	s_add_i32 s11, s11, 4
	s_add_u32 s0, s0, 32
	s_addc_u32 s1, s1, 0
	s_cmp_lg_u32 s9, s11
	s_waitcnt lgkmcnt(0)
	v_mul_hi_u32 v3, s17, v1
	v_add_nc_u32_e32 v3, v1, v3
	v_lshrrev_b32_e32 v3, s18, v3
	v_mul_hi_u32 v6, s20, v3
	v_mul_lo_u32 v8, v3, s16
	v_add_nc_u32_e32 v6, v3, v6
	v_sub_nc_u32_e32 v1, v1, v8
	v_lshrrev_b32_e32 v6, s21, v6
	v_mul_lo_u32 v8, v1, s36
	v_mul_lo_u32 v10, v1, s37
	v_mul_hi_u32 v7, s23, v6
	v_add_nc_u32_e32 v7, v6, v7
	v_lshrrev_b32_e32 v7, s28, v7
	v_mul_hi_u32 v9, s30, v7
	v_mul_lo_u32 v12, v7, s22
	v_add_nc_u32_e32 v1, v7, v9
	v_mul_lo_u32 v9, v6, s19
	v_sub_nc_u32_e32 v6, v6, v12
	v_lshrrev_b32_e32 v1, s31, v1
	v_mul_lo_u32 v12, v6, s40
	v_mul_lo_u32 v6, v6, s41
	v_sub_nc_u32_e32 v3, v3, v9
	v_mul_lo_u32 v13, v1, s29
	v_mul_lo_u32 v9, v3, s38
	;; [unrolled: 1-line block ×3, first 2 shown]
	v_sub_nc_u32_e32 v7, v7, v13
	v_add3_u32 v2, v8, v2, v9
	v_mul_lo_u32 v13, v7, s42
	v_mul_lo_u32 v7, v7, s43
	v_add3_u32 v0, v10, v0, v3
	v_add3_u32 v2, v12, v2, v13
	;; [unrolled: 1-line block ×3, first 2 shown]
	s_cbranch_scc1 .LBB9_1142
; %bb.1143:
	s_and_b32 s10, s10, 3
	s_cmp_eq_u32 s10, 0
	s_cbranch_scc0 .LBB9_1147
	s_branch .LBB9_1149
.LBB9_1144:
	s_mov_b32 s8, -1
                                        ; implicit-def: $vgpr2
                                        ; implicit-def: $vgpr0
	s_branch .LBB9_1149
.LBB9_1145:
	v_mov_b32_e32 v2, 0
	v_mov_b32_e32 v0, 0
	s_branch .LBB9_1149
.LBB9_1146:
	v_mov_b32_e32 v2, 0
	v_mov_b32_e32 v0, 0
	v_mov_b32_e32 v1, v11
	s_mov_b32 s9, 0
	s_and_b32 s10, s10, 3
	s_cmp_eq_u32 s10, 0
	s_cbranch_scc1 .LBB9_1149
.LBB9_1147:
	s_lshl_b32 s0, s9, 3
	s_mul_i32 s6, s9, 12
	s_add_u32 s0, s2, s0
	s_addc_u32 s1, s3, 0
	s_add_u32 s0, s0, 0xc4
	s_addc_u32 s1, s1, 0
	s_add_u32 s6, s2, s6
	s_addc_u32 s7, s3, 0
	.p2align	6
.LBB9_1148:                             ; =>This Inner Loop Header: Depth=1
	s_clause 0x1
	s_load_dwordx2 s[14:15], s[6:7], 0x4
	s_load_dword s9, s[6:7], 0xc
	s_load_dwordx2 s[16:17], s[0:1], 0x0
	s_add_u32 s6, s6, 12
	s_addc_u32 s7, s7, 0
	s_add_u32 s0, s0, 8
	s_addc_u32 s1, s1, 0
	s_add_i32 s10, s10, -1
	s_cmp_lg_u32 s10, 0
	s_waitcnt lgkmcnt(0)
	v_mul_hi_u32 v3, s15, v1
	v_add_nc_u32_e32 v3, v1, v3
	v_lshrrev_b32_e32 v6, s9, v3
	v_mul_lo_u32 v3, v6, s14
	v_sub_nc_u32_e32 v1, v1, v3
	v_mad_u64_u32 v[2:3], null, v1, s16, v[2:3]
	v_mad_u64_u32 v[0:1], null, v1, s17, v[0:1]
	v_mov_b32_e32 v1, v6
	s_cbranch_scc1 .LBB9_1148
.LBB9_1149:
	s_andn2_b32 vcc_lo, exec_lo, s8
	s_cbranch_vccnz .LBB9_1152
; %bb.1150:
	s_clause 0x1
	s_load_dwordx4 s[8:11], s[2:3], 0x4
	s_load_dwordx2 s[0:1], s[2:3], 0xc4
	s_cmp_lt_u32 s24, 2
	s_waitcnt lgkmcnt(0)
	v_mul_hi_u32 v0, s9, v11
	v_add_nc_u32_e32 v0, v11, v0
	v_lshrrev_b32_e32 v1, s10, v0
	v_mul_lo_u32 v0, v1, s8
	v_sub_nc_u32_e32 v0, v11, v0
	v_mul_lo_u32 v2, v0, s0
	v_mul_lo_u32 v0, v0, s1
	s_cbranch_scc1 .LBB9_1152
; %bb.1151:
	s_clause 0x1
	s_load_dwordx4 s[8:11], s[2:3], 0x10
	s_load_dwordx2 s[0:1], s[2:3], 0xcc
	s_waitcnt lgkmcnt(0)
	v_mul_hi_u32 v3, s9, v1
	v_add_nc_u32_e32 v3, v1, v3
	v_lshrrev_b32_e32 v3, s10, v3
	v_mul_lo_u32 v3, v3, s8
	v_sub_nc_u32_e32 v1, v1, v3
	v_mad_u64_u32 v[2:3], null, v1, s0, v[2:3]
	v_mad_u64_u32 v[0:1], null, v1, s1, v[0:1]
.LBB9_1152:
	v_cmp_ne_u32_e32 vcc_lo, 1, v4
	v_add_nc_u32_e32 v1, 0x80, v11
	s_cbranch_vccnz .LBB9_1158
; %bb.1153:
	s_cmp_lg_u32 s24, 0
	s_mov_b32 s8, 0
	s_cbranch_scc0 .LBB9_1159
; %bb.1154:
	s_min_u32 s10, s25, 15
	s_add_i32 s10, s10, 1
	s_cmp_eq_u32 s25, 2
	s_cbranch_scc1 .LBB9_1160
; %bb.1155:
	v_mov_b32_e32 v9, 0
	v_mov_b32_e32 v6, 0
	;; [unrolled: 1-line block ×3, first 2 shown]
	s_and_b32 s9, s10, 28
	s_add_u32 s0, s2, 0xc4
	s_addc_u32 s1, s3, 0
	s_mov_b32 s11, 0
	s_mov_b64 s[6:7], s[2:3]
.LBB9_1156:                             ; =>This Inner Loop Header: Depth=1
	s_clause 0x1
	s_load_dwordx8 s[16:23], s[6:7], 0x4
	s_load_dwordx4 s[28:31], s[6:7], 0x24
	s_load_dwordx8 s[36:43], s[0:1], 0x0
	s_add_u32 s6, s6, 48
	s_addc_u32 s7, s7, 0
	s_add_i32 s11, s11, 4
	s_add_u32 s0, s0, 32
	s_addc_u32 s1, s1, 0
	s_cmp_lg_u32 s9, s11
	s_waitcnt lgkmcnt(0)
	v_mul_hi_u32 v7, s17, v3
	v_add_nc_u32_e32 v7, v3, v7
	v_lshrrev_b32_e32 v7, s18, v7
	v_mul_hi_u32 v8, s20, v7
	v_mul_lo_u32 v12, v7, s16
	v_add_nc_u32_e32 v8, v7, v8
	v_sub_nc_u32_e32 v3, v3, v12
	v_lshrrev_b32_e32 v8, s21, v8
	v_mul_lo_u32 v12, v3, s36
	v_mul_lo_u32 v14, v3, s37
	v_mul_hi_u32 v10, s23, v8
	v_add_nc_u32_e32 v10, v8, v10
	v_lshrrev_b32_e32 v10, s28, v10
	v_mul_hi_u32 v13, s30, v10
	v_mul_lo_u32 v15, v10, s22
	v_add_nc_u32_e32 v3, v10, v13
	v_mul_lo_u32 v13, v8, s19
	v_sub_nc_u32_e32 v8, v8, v15
	v_lshrrev_b32_e32 v3, s31, v3
	v_mul_lo_u32 v15, v8, s40
	v_mul_lo_u32 v8, v8, s41
	v_sub_nc_u32_e32 v7, v7, v13
	v_mul_lo_u32 v16, v3, s29
	v_mul_lo_u32 v13, v7, s38
	;; [unrolled: 1-line block ×3, first 2 shown]
	v_sub_nc_u32_e32 v10, v10, v16
	v_add3_u32 v6, v12, v6, v13
	v_mul_lo_u32 v16, v10, s42
	v_mul_lo_u32 v10, v10, s43
	v_add3_u32 v7, v14, v9, v7
	v_add3_u32 v6, v15, v6, v16
	;; [unrolled: 1-line block ×3, first 2 shown]
	s_cbranch_scc1 .LBB9_1156
; %bb.1157:
	s_and_b32 s10, s10, 3
	s_cmp_eq_u32 s10, 0
	s_cbranch_scc0 .LBB9_1161
	s_branch .LBB9_1163
.LBB9_1158:
	s_mov_b32 s8, -1
                                        ; implicit-def: $vgpr6
                                        ; implicit-def: $vgpr9
	s_branch .LBB9_1163
.LBB9_1159:
	v_mov_b32_e32 v6, 0
	v_mov_b32_e32 v9, 0
	s_branch .LBB9_1163
.LBB9_1160:
	v_mov_b32_e32 v6, 0
	v_mov_b32_e32 v9, 0
	v_mov_b32_e32 v3, v1
	s_mov_b32 s9, 0
	s_and_b32 s10, s10, 3
	s_cmp_eq_u32 s10, 0
	s_cbranch_scc1 .LBB9_1163
.LBB9_1161:
	s_lshl_b32 s0, s9, 3
	s_mul_i32 s6, s9, 12
	s_add_u32 s0, s2, s0
	s_addc_u32 s1, s3, 0
	s_add_u32 s0, s0, 0xc4
	s_addc_u32 s1, s1, 0
	;; [unrolled: 2-line block ×3, first 2 shown]
	.p2align	6
.LBB9_1162:                             ; =>This Inner Loop Header: Depth=1
	s_clause 0x1
	s_load_dwordx2 s[14:15], s[6:7], 0x4
	s_load_dword s9, s[6:7], 0xc
	s_load_dwordx2 s[16:17], s[0:1], 0x0
	s_add_u32 s6, s6, 12
	s_addc_u32 s7, s7, 0
	s_add_u32 s0, s0, 8
	s_addc_u32 s1, s1, 0
	s_add_i32 s10, s10, -1
	s_cmp_lg_u32 s10, 0
	s_waitcnt lgkmcnt(0)
	v_mul_hi_u32 v7, s15, v3
	v_add_nc_u32_e32 v7, v3, v7
	v_lshrrev_b32_e32 v8, s9, v7
	v_mul_lo_u32 v7, v8, s14
	v_sub_nc_u32_e32 v3, v3, v7
	v_mad_u64_u32 v[6:7], null, v3, s16, v[6:7]
	v_mad_u64_u32 v[9:10], null, v3, s17, v[9:10]
	v_mov_b32_e32 v3, v8
	s_cbranch_scc1 .LBB9_1162
.LBB9_1163:
	s_andn2_b32 vcc_lo, exec_lo, s8
	s_cbranch_vccnz .LBB9_1166
; %bb.1164:
	s_clause 0x1
	s_load_dwordx4 s[8:11], s[2:3], 0x4
	s_load_dwordx2 s[0:1], s[2:3], 0xc4
	s_cmp_lt_u32 s24, 2
	s_waitcnt lgkmcnt(0)
	v_mul_hi_u32 v3, s9, v1
	v_add_nc_u32_e32 v3, v1, v3
	v_lshrrev_b32_e32 v3, s10, v3
	v_mul_lo_u32 v6, v3, s8
	v_sub_nc_u32_e32 v1, v1, v6
	v_mul_lo_u32 v6, v1, s0
	v_mul_lo_u32 v9, v1, s1
	s_cbranch_scc1 .LBB9_1166
; %bb.1165:
	s_clause 0x1
	s_load_dwordx4 s[8:11], s[2:3], 0x10
	s_load_dwordx2 s[0:1], s[2:3], 0xcc
	s_waitcnt lgkmcnt(0)
	v_mul_hi_u32 v1, s9, v3
	v_add_nc_u32_e32 v1, v3, v1
	v_lshrrev_b32_e32 v1, s10, v1
	v_mul_lo_u32 v1, v1, s8
	v_sub_nc_u32_e32 v1, v3, v1
	v_mad_u64_u32 v[6:7], null, v1, s0, v[6:7]
	v_mad_u64_u32 v[9:10], null, v1, s1, v[9:10]
.LBB9_1166:
	v_cmp_ne_u32_e32 vcc_lo, 1, v4
	v_add_nc_u32_e32 v1, 0x100, v11
	s_cbranch_vccnz .LBB9_1172
; %bb.1167:
	s_cmp_lg_u32 s24, 0
	s_mov_b32 s8, 0
	s_cbranch_scc0 .LBB9_1173
; %bb.1168:
	s_min_u32 s10, s25, 15
	s_add_i32 s10, s10, 1
	s_cmp_eq_u32 s25, 2
	s_cbranch_scc1 .LBB9_1174
; %bb.1169:
	v_mov_b32_e32 v7, 0
	v_mov_b32_e32 v10, 0
	;; [unrolled: 1-line block ×3, first 2 shown]
	s_and_b32 s9, s10, 28
	s_add_u32 s0, s2, 0xc4
	s_addc_u32 s1, s3, 0
	s_mov_b32 s11, 0
	s_mov_b64 s[6:7], s[2:3]
.LBB9_1170:                             ; =>This Inner Loop Header: Depth=1
	s_clause 0x1
	s_load_dwordx8 s[16:23], s[6:7], 0x4
	s_load_dwordx4 s[28:31], s[6:7], 0x24
	s_load_dwordx8 s[36:43], s[0:1], 0x0
	s_add_u32 s6, s6, 48
	s_addc_u32 s7, s7, 0
	s_add_i32 s11, s11, 4
	s_add_u32 s0, s0, 32
	s_addc_u32 s1, s1, 0
	s_cmp_lg_u32 s9, s11
	s_waitcnt lgkmcnt(0)
	v_mul_hi_u32 v8, s17, v3
	v_add_nc_u32_e32 v8, v3, v8
	v_lshrrev_b32_e32 v8, s18, v8
	v_mul_hi_u32 v11, s20, v8
	v_mul_lo_u32 v13, v8, s16
	v_add_nc_u32_e32 v11, v8, v11
	v_sub_nc_u32_e32 v3, v3, v13
	v_lshrrev_b32_e32 v11, s21, v11
	v_mul_lo_u32 v13, v3, s36
	v_mul_lo_u32 v15, v3, s37
	v_mul_hi_u32 v12, s23, v11
	v_add_nc_u32_e32 v12, v11, v12
	v_lshrrev_b32_e32 v12, s28, v12
	v_mul_hi_u32 v14, s30, v12
	v_mul_lo_u32 v16, v12, s22
	v_add_nc_u32_e32 v3, v12, v14
	v_mul_lo_u32 v14, v11, s19
	v_sub_nc_u32_e32 v11, v11, v16
	v_lshrrev_b32_e32 v3, s31, v3
	v_mul_lo_u32 v16, v11, s40
	v_mul_lo_u32 v11, v11, s41
	v_sub_nc_u32_e32 v8, v8, v14
	v_mul_lo_u32 v17, v3, s29
	v_mul_lo_u32 v14, v8, s38
	v_mul_lo_u32 v8, v8, s39
	v_sub_nc_u32_e32 v12, v12, v17
	v_add3_u32 v10, v13, v10, v14
	v_mul_lo_u32 v17, v12, s42
	v_mul_lo_u32 v12, v12, s43
	v_add3_u32 v7, v15, v7, v8
	v_add3_u32 v10, v16, v10, v17
	;; [unrolled: 1-line block ×3, first 2 shown]
	s_cbranch_scc1 .LBB9_1170
; %bb.1171:
	s_and_b32 s10, s10, 3
	s_cmp_eq_u32 s10, 0
	s_cbranch_scc0 .LBB9_1175
	s_branch .LBB9_1177
.LBB9_1172:
	s_mov_b32 s8, -1
                                        ; implicit-def: $vgpr10
                                        ; implicit-def: $vgpr7
	s_branch .LBB9_1177
.LBB9_1173:
	v_mov_b32_e32 v10, 0
	v_mov_b32_e32 v7, 0
	s_branch .LBB9_1177
.LBB9_1174:
	v_mov_b32_e32 v10, 0
	v_mov_b32_e32 v7, 0
	;; [unrolled: 1-line block ×3, first 2 shown]
	s_mov_b32 s9, 0
	s_and_b32 s10, s10, 3
	s_cmp_eq_u32 s10, 0
	s_cbranch_scc1 .LBB9_1177
.LBB9_1175:
	s_lshl_b32 s0, s9, 3
	s_mul_i32 s6, s9, 12
	s_add_u32 s0, s2, s0
	s_addc_u32 s1, s3, 0
	s_add_u32 s0, s0, 0xc4
	s_addc_u32 s1, s1, 0
	;; [unrolled: 2-line block ×3, first 2 shown]
	.p2align	6
.LBB9_1176:                             ; =>This Inner Loop Header: Depth=1
	s_clause 0x1
	s_load_dwordx2 s[14:15], s[6:7], 0x4
	s_load_dword s9, s[6:7], 0xc
	s_load_dwordx2 s[16:17], s[0:1], 0x0
	s_add_u32 s6, s6, 12
	s_addc_u32 s7, s7, 0
	s_add_u32 s0, s0, 8
	s_addc_u32 s1, s1, 0
	s_add_i32 s10, s10, -1
	s_cmp_lg_u32 s10, 0
	s_waitcnt lgkmcnt(0)
	v_mul_hi_u32 v8, s15, v3
	v_add_nc_u32_e32 v8, v3, v8
	v_lshrrev_b32_e32 v12, s9, v8
	v_mul_lo_u32 v8, v12, s14
	v_sub_nc_u32_e32 v3, v3, v8
	v_mad_u64_u32 v[10:11], null, v3, s16, v[10:11]
	v_mad_u64_u32 v[7:8], null, v3, s17, v[7:8]
	v_mov_b32_e32 v3, v12
	s_cbranch_scc1 .LBB9_1176
.LBB9_1177:
	s_andn2_b32 vcc_lo, exec_lo, s8
	s_cbranch_vccnz .LBB9_1180
; %bb.1178:
	s_clause 0x1
	s_load_dwordx4 s[8:11], s[2:3], 0x4
	s_load_dwordx2 s[0:1], s[2:3], 0xc4
	s_cmp_lt_u32 s24, 2
	s_waitcnt lgkmcnt(0)
	v_mul_hi_u32 v3, s9, v1
	v_add_nc_u32_e32 v3, v1, v3
	v_lshrrev_b32_e32 v3, s10, v3
	v_mul_lo_u32 v7, v3, s8
	v_sub_nc_u32_e32 v1, v1, v7
	v_mul_lo_u32 v10, v1, s0
	v_mul_lo_u32 v7, v1, s1
	s_cbranch_scc1 .LBB9_1180
; %bb.1179:
	s_clause 0x1
	s_load_dwordx4 s[8:11], s[2:3], 0x10
	s_load_dwordx2 s[0:1], s[2:3], 0xcc
	s_waitcnt lgkmcnt(0)
	v_mul_hi_u32 v1, s9, v3
	v_add_nc_u32_e32 v1, v3, v1
	v_lshrrev_b32_e32 v1, s10, v1
	v_mul_lo_u32 v1, v1, s8
	v_sub_nc_u32_e32 v1, v3, v1
	v_mad_u64_u32 v[10:11], null, v1, s0, v[10:11]
	v_mad_u64_u32 v[7:8], null, v1, s1, v[7:8]
.LBB9_1180:
	v_cmp_ne_u32_e32 vcc_lo, 1, v4
	s_cbranch_vccnz .LBB9_1186
; %bb.1181:
	s_cmp_lg_u32 s24, 0
	s_mov_b32 s8, 0
	s_cbranch_scc0 .LBB9_1187
; %bb.1182:
	s_min_u32 s10, s25, 15
	s_add_i32 s10, s10, 1
	s_cmp_eq_u32 s25, 2
	s_cbranch_scc1 .LBB9_1188
; %bb.1183:
	v_mov_b32_e32 v3, 0
	v_mov_b32_e32 v14, 0
	;; [unrolled: 1-line block ×3, first 2 shown]
	s_and_b32 s9, s10, 28
	s_add_u32 s0, s2, 0xc4
	s_addc_u32 s1, s3, 0
	s_mov_b32 s11, 0
	s_mov_b64 s[6:7], s[2:3]
.LBB9_1184:                             ; =>This Inner Loop Header: Depth=1
	s_clause 0x1
	s_load_dwordx8 s[16:23], s[6:7], 0x4
	s_load_dwordx4 s[28:31], s[6:7], 0x24
	s_load_dwordx8 s[36:43], s[0:1], 0x0
	s_add_u32 s6, s6, 48
	s_addc_u32 s7, s7, 0
	s_add_i32 s11, s11, 4
	s_add_u32 s0, s0, 32
	s_addc_u32 s1, s1, 0
	s_cmp_lg_u32 s9, s11
	s_waitcnt lgkmcnt(0)
	v_mul_hi_u32 v4, s17, v1
	v_add_nc_u32_e32 v4, v1, v4
	v_lshrrev_b32_e32 v4, s18, v4
	v_mul_hi_u32 v8, s20, v4
	v_mul_lo_u32 v12, v4, s16
	v_add_nc_u32_e32 v8, v4, v8
	v_sub_nc_u32_e32 v1, v1, v12
	v_lshrrev_b32_e32 v8, s21, v8
	v_mul_lo_u32 v12, v1, s36
	v_mul_lo_u32 v15, v1, s37
	v_mul_hi_u32 v11, s23, v8
	v_add_nc_u32_e32 v11, v8, v11
	v_lshrrev_b32_e32 v11, s28, v11
	v_mul_hi_u32 v13, s30, v11
	v_mul_lo_u32 v16, v11, s22
	v_add_nc_u32_e32 v1, v11, v13
	v_mul_lo_u32 v13, v8, s19
	v_sub_nc_u32_e32 v8, v8, v16
	v_lshrrev_b32_e32 v1, s31, v1
	v_mul_lo_u32 v16, v8, s40
	v_mul_lo_u32 v8, v8, s41
	v_sub_nc_u32_e32 v4, v4, v13
	v_mul_lo_u32 v17, v1, s29
	v_mul_lo_u32 v13, v4, s38
	;; [unrolled: 1-line block ×3, first 2 shown]
	v_sub_nc_u32_e32 v11, v11, v17
	v_add3_u32 v12, v12, v14, v13
	v_mul_lo_u32 v17, v11, s42
	v_mul_lo_u32 v11, v11, s43
	v_add3_u32 v3, v15, v3, v4
	v_add3_u32 v14, v16, v12, v17
	;; [unrolled: 1-line block ×3, first 2 shown]
	s_cbranch_scc1 .LBB9_1184
; %bb.1185:
	s_and_b32 s10, s10, 3
	s_cmp_eq_u32 s10, 0
	s_cbranch_scc0 .LBB9_1189
	s_branch .LBB9_1191
.LBB9_1186:
	s_mov_b32 s8, -1
                                        ; implicit-def: $vgpr14
                                        ; implicit-def: $vgpr3
	s_branch .LBB9_1191
.LBB9_1187:
	v_mov_b32_e32 v14, 0
	v_mov_b32_e32 v3, 0
	s_branch .LBB9_1191
.LBB9_1188:
	v_mov_b32_e32 v14, 0
	v_mov_b32_e32 v3, 0
	;; [unrolled: 1-line block ×3, first 2 shown]
	s_mov_b32 s9, 0
	s_and_b32 s10, s10, 3
	s_cmp_eq_u32 s10, 0
	s_cbranch_scc1 .LBB9_1191
.LBB9_1189:
	s_lshl_b32 s0, s9, 3
	s_mul_i32 s6, s9, 12
	s_add_u32 s0, s2, s0
	s_addc_u32 s1, s3, 0
	s_add_u32 s0, s0, 0xc4
	s_addc_u32 s1, s1, 0
	;; [unrolled: 2-line block ×3, first 2 shown]
	.p2align	6
.LBB9_1190:                             ; =>This Inner Loop Header: Depth=1
	s_clause 0x1
	s_load_dwordx2 s[14:15], s[6:7], 0x4
	s_load_dword s9, s[6:7], 0xc
	s_load_dwordx2 s[16:17], s[0:1], 0x0
	s_add_u32 s6, s6, 12
	s_addc_u32 s7, s7, 0
	s_add_u32 s0, s0, 8
	s_addc_u32 s1, s1, 0
	s_add_i32 s10, s10, -1
	s_cmp_lg_u32 s10, 0
	s_waitcnt lgkmcnt(0)
	v_mul_hi_u32 v4, s15, v1
	v_add_nc_u32_e32 v4, v1, v4
	v_lshrrev_b32_e32 v8, s9, v4
	v_mul_lo_u32 v4, v8, s14
	v_sub_nc_u32_e32 v1, v1, v4
	v_mad_u64_u32 v[14:15], null, v1, s16, v[14:15]
	v_mad_u64_u32 v[3:4], null, v1, s17, v[3:4]
	v_mov_b32_e32 v1, v8
	s_cbranch_scc1 .LBB9_1190
.LBB9_1191:
	s_andn2_b32 vcc_lo, exec_lo, s8
	s_cbranch_vccnz .LBB9_1194
; %bb.1192:
	s_clause 0x1
	s_load_dwordx4 s[8:11], s[2:3], 0x4
	s_load_dwordx2 s[0:1], s[2:3], 0xc4
	s_cmp_lt_u32 s24, 2
	s_waitcnt lgkmcnt(0)
	v_mul_hi_u32 v1, s9, v5
	v_add_nc_u32_e32 v1, v5, v1
	v_lshrrev_b32_e32 v1, s10, v1
	v_mul_lo_u32 v3, v1, s8
	v_sub_nc_u32_e32 v3, v5, v3
	v_mul_lo_u32 v14, v3, s0
	v_mul_lo_u32 v3, v3, s1
	s_cbranch_scc1 .LBB9_1194
; %bb.1193:
	s_clause 0x1
	s_load_dwordx4 s[8:11], s[2:3], 0x10
	s_load_dwordx2 s[0:1], s[2:3], 0xcc
	s_waitcnt lgkmcnt(0)
	v_mul_hi_u32 v4, s9, v1
	v_add_nc_u32_e32 v4, v1, v4
	v_lshrrev_b32_e32 v4, s10, v4
	v_mul_lo_u32 v4, v4, s8
	v_sub_nc_u32_e32 v1, v1, v4
	v_mad_u64_u32 v[14:15], null, v1, s0, v[14:15]
	v_mad_u64_u32 v[3:4], null, v1, s1, v[3:4]
.LBB9_1194:
	s_clause 0x1
	s_load_dwordx4 s[8:11], s[2:3], 0x148
	s_load_dword s2, s[4:5], 0x160
	s_waitcnt lgkmcnt(0)
	v_add_co_u32 v0, s0, s10, v0
	v_add_co_ci_u32_e64 v1, null, s11, 0, s0
	s_bfe_u32 s0, s2, 0x80010
	s_cmp_lt_i32 s0, 11
	s_cbranch_scc1 .LBB9_1201
; %bb.1195:
	s_and_b32 s1, 0xffff, s0
	s_mov_b32 s4, 0
	s_cmp_gt_i32 s1, 25
	s_cbranch_scc0 .LBB9_1203
; %bb.1196:
	s_cmp_gt_i32 s1, 28
	s_cbranch_scc0 .LBB9_1204
; %bb.1197:
	;; [unrolled: 3-line block ×4, first 2 shown]
	s_cmp_eq_u32 s1, 46
	s_mov_b32 s6, 0
	s_cbranch_scc0 .LBB9_1209
; %bb.1200:
	global_load_dword v4, v[0:1], off
	s_mov_b32 s3, 0
	s_mov_b32 s5, -1
	s_waitcnt vmcnt(0)
	v_lshlrev_b32_e32 v4, 16, v4
	v_cvt_f64_f32_e32 v[4:5], v4
	s_branch .LBB9_1211
.LBB9_1201:
	s_mov_b32 s5, 0
	s_mov_b32 s1, s12
                                        ; implicit-def: $vgpr4_vgpr5
	s_cbranch_execnz .LBB9_1274
.LBB9_1202:
	s_andn2_b32 vcc_lo, exec_lo, s5
	s_cbranch_vccz .LBB9_1319
	s_branch .LBB9_1836
.LBB9_1203:
	s_mov_b32 s5, 0
	s_mov_b32 s3, 0
                                        ; implicit-def: $vgpr4_vgpr5
	s_cbranch_execnz .LBB9_1241
	s_branch .LBB9_1270
.LBB9_1204:
	s_mov_b32 s6, -1
	s_mov_b32 s5, 0
	s_mov_b32 s3, 0
                                        ; implicit-def: $vgpr4_vgpr5
	s_branch .LBB9_1220
.LBB9_1205:
	s_mov_b32 s5, 0
	s_mov_b32 s3, 0
                                        ; implicit-def: $vgpr4_vgpr5
	s_cbranch_execnz .LBB9_1216
	s_branch .LBB9_1219
.LBB9_1206:
	s_mov_b32 s6, -1
	s_mov_b32 s5, 0
	s_mov_b32 s3, 0
	s_branch .LBB9_1210
.LBB9_1207:
	s_andn2_saveexec_b32 s11, s11
	s_cbranch_execz .LBB9_1050
.LBB9_1208:
	v_add_f32_e64 v3, 0x46000000, |v2|
	s_andn2_b32 s10, s10, exec_lo
	v_and_b32_e32 v3, 0xff, v3
	v_cmp_ne_u32_e32 vcc_lo, 0, v3
	s_and_b32 s12, vcc_lo, exec_lo
	s_or_b32 s10, s10, s12
	s_or_b32 exec_lo, exec_lo, s11
	v_mov_b32_e32 v4, 0
	s_and_saveexec_b32 s11, s10
	s_cbranch_execnz .LBB9_1051
	s_branch .LBB9_1052
.LBB9_1209:
	s_mov_b32 s3, -1
	s_mov_b32 s5, 0
.LBB9_1210:
                                        ; implicit-def: $vgpr4_vgpr5
.LBB9_1211:
	s_and_b32 vcc_lo, exec_lo, s6
	s_cbranch_vccz .LBB9_1214
; %bb.1212:
	s_cmp_eq_u32 s1, 44
	s_cbranch_scc0 .LBB9_1215
; %bb.1213:
	global_load_ubyte v8, v[0:1], off
	s_mov_b32 s3, 0
	s_mov_b32 s5, -1
	s_waitcnt vmcnt(0)
	v_lshlrev_b32_e32 v4, 23, v8
	v_cmp_ne_u32_e32 vcc_lo, 0xff, v8
	v_cvt_f64_f32_e32 v[4:5], v4
	v_cndmask_b32_e32 v4, 0x20000000, v4, vcc_lo
	v_cndmask_b32_e32 v5, 0x7ff80000, v5, vcc_lo
	v_cmp_ne_u32_e32 vcc_lo, 0, v8
	v_cndmask_b32_e32 v5, 0x38000000, v5, vcc_lo
	v_cndmask_b32_e32 v4, 0, v4, vcc_lo
.LBB9_1214:
	s_branch .LBB9_1219
.LBB9_1215:
	s_mov_b32 s3, -1
                                        ; implicit-def: $vgpr4_vgpr5
	s_branch .LBB9_1219
.LBB9_1216:
	s_cmp_eq_u32 s1, 29
	s_cbranch_scc0 .LBB9_1218
; %bb.1217:
	global_load_dwordx2 v[4:5], v[0:1], off
	s_mov_b32 s3, 0
	s_mov_b32 s5, -1
	s_mov_b32 s6, 0
	s_waitcnt vmcnt(0)
	v_cvt_f64_u32_e32 v[11:12], v5
	v_cvt_f64_u32_e32 v[4:5], v4
	v_ldexp_f64 v[11:12], v[11:12], 32
	v_add_f64 v[4:5], v[11:12], v[4:5]
	s_branch .LBB9_1220
.LBB9_1218:
	s_mov_b32 s3, -1
                                        ; implicit-def: $vgpr4_vgpr5
.LBB9_1219:
	s_mov_b32 s6, 0
.LBB9_1220:
	s_and_b32 vcc_lo, exec_lo, s6
	s_cbranch_vccz .LBB9_1240
; %bb.1221:
	s_cmp_lt_i32 s1, 27
	s_cbranch_scc1 .LBB9_1224
; %bb.1222:
	s_cmp_gt_i32 s1, 27
	s_cbranch_scc0 .LBB9_1225
; %bb.1223:
	global_load_dword v4, v[0:1], off
	s_mov_b32 s5, 0
	s_waitcnt vmcnt(0)
	v_cvt_f64_u32_e32 v[4:5], v4
	s_branch .LBB9_1226
.LBB9_1224:
	s_mov_b32 s5, -1
                                        ; implicit-def: $vgpr4_vgpr5
	s_branch .LBB9_1229
.LBB9_1225:
	s_mov_b32 s5, -1
                                        ; implicit-def: $vgpr4_vgpr5
.LBB9_1226:
	s_andn2_b32 vcc_lo, exec_lo, s5
	s_cbranch_vccnz .LBB9_1228
; %bb.1227:
	global_load_ushort v4, v[0:1], off
	s_waitcnt vmcnt(0)
	v_cvt_f64_u32_e32 v[4:5], v4
.LBB9_1228:
	s_mov_b32 s5, 0
.LBB9_1229:
	s_andn2_b32 vcc_lo, exec_lo, s5
	s_cbranch_vccnz .LBB9_1239
; %bb.1230:
	global_load_ubyte v8, v[0:1], off
	s_mov_b32 s5, 0
	s_mov_b32 s6, exec_lo
	s_waitcnt vmcnt(0)
	v_cmpx_lt_i16_e32 0x7f, v8
	s_xor_b32 s6, exec_lo, s6
	s_cbranch_execz .LBB9_1234
; %bb.1231:
	s_mov_b32 s5, -1
	s_mov_b32 s7, exec_lo
	v_cmpx_eq_u16_e32 0x80, v8
; %bb.1232:
	s_xor_b32 s5, exec_lo, -1
; %bb.1233:
	s_or_b32 exec_lo, exec_lo, s7
	s_and_b32 s5, s5, exec_lo
.LBB9_1234:
	s_or_saveexec_b32 s6, s6
	v_bfrev_b32_e32 v4, 4
	v_mov_b32_e32 v5, 0x7ff80000
	s_xor_b32 exec_lo, exec_lo, s6
; %bb.1235:
	v_cmp_ne_u16_e32 vcc_lo, 0, v8
	v_mov_b32_e32 v4, 0
	v_mov_b32_e32 v5, 0
	s_andn2_b32 s5, s5, exec_lo
	s_and_b32 s7, vcc_lo, exec_lo
	s_or_b32 s5, s5, s7
; %bb.1236:
	s_or_b32 exec_lo, exec_lo, s6
	s_and_saveexec_b32 s6, s5
	s_cbranch_execz .LBB9_1238
; %bb.1237:
	v_and_b32_e32 v4, 0xffff, v8
	v_lshlrev_b32_e32 v8, 24, v8
	v_and_b32_e32 v5, 7, v4
	v_bfe_u32 v13, v4, 3, 4
	v_ffbh_u32_e32 v11, v5
	v_cmp_eq_u32_e32 vcc_lo, 0, v13
	v_min_u32_e32 v11, 32, v11
	v_subrev_nc_u32_e32 v12, 28, v11
	v_sub_nc_u32_e32 v11, 29, v11
	v_lshlrev_b32_e32 v4, v12, v4
	v_cndmask_b32_e32 v11, v13, v11, vcc_lo
	v_and_b32_e32 v4, 7, v4
	v_cndmask_b32_e32 v4, v5, v4, vcc_lo
	v_and_b32_e32 v5, 0x80000000, v8
	v_lshl_add_u32 v8, v11, 23, 0x3b800000
	v_lshlrev_b32_e32 v4, 20, v4
	v_or3_b32 v4, v5, v8, v4
	v_cvt_f64_f32_e32 v[4:5], v4
.LBB9_1238:
	s_or_b32 exec_lo, exec_lo, s6
.LBB9_1239:
	s_mov_b32 s5, -1
.LBB9_1240:
	s_branch .LBB9_1270
.LBB9_1241:
	s_cmp_gt_i32 s1, 22
	s_cbranch_scc0 .LBB9_1253
; %bb.1242:
	s_cmp_lt_i32 s1, 24
	s_cbranch_scc1 .LBB9_1254
; %bb.1243:
	s_cmp_gt_i32 s1, 24
	s_cbranch_scc0 .LBB9_1255
; %bb.1244:
	global_load_ubyte v8, v[0:1], off
	s_mov_b32 s5, exec_lo
	s_waitcnt vmcnt(0)
	v_cmpx_lt_i16_e32 0x7f, v8
	s_xor_b32 s5, exec_lo, s5
	s_cbranch_execz .LBB9_1248
; %bb.1245:
	s_mov_b32 s4, -1
	s_mov_b32 s6, exec_lo
	v_cmpx_eq_u16_e32 0x80, v8
; %bb.1246:
	s_xor_b32 s4, exec_lo, -1
; %bb.1247:
	s_or_b32 exec_lo, exec_lo, s6
	s_and_b32 s4, s4, exec_lo
.LBB9_1248:
	s_or_saveexec_b32 s5, s5
	v_bfrev_b32_e32 v4, 4
	v_mov_b32_e32 v5, 0x7ff80000
	s_xor_b32 exec_lo, exec_lo, s5
; %bb.1249:
	v_cmp_ne_u16_e32 vcc_lo, 0, v8
	v_mov_b32_e32 v4, 0
	v_mov_b32_e32 v5, 0
	s_andn2_b32 s4, s4, exec_lo
	s_and_b32 s6, vcc_lo, exec_lo
	s_or_b32 s4, s4, s6
; %bb.1250:
	s_or_b32 exec_lo, exec_lo, s5
	s_and_saveexec_b32 s5, s4
	s_cbranch_execz .LBB9_1252
; %bb.1251:
	v_and_b32_e32 v4, 0xffff, v8
	v_lshlrev_b32_e32 v8, 24, v8
	v_and_b32_e32 v5, 3, v4
	v_bfe_u32 v13, v4, 2, 5
	v_ffbh_u32_e32 v11, v5
	v_cmp_eq_u32_e32 vcc_lo, 0, v13
	v_min_u32_e32 v11, 32, v11
	v_subrev_nc_u32_e32 v12, 29, v11
	v_sub_nc_u32_e32 v11, 30, v11
	v_lshlrev_b32_e32 v4, v12, v4
	v_cndmask_b32_e32 v11, v13, v11, vcc_lo
	v_and_b32_e32 v4, 3, v4
	v_cndmask_b32_e32 v4, v5, v4, vcc_lo
	v_and_b32_e32 v5, 0x80000000, v8
	v_lshl_add_u32 v8, v11, 23, 0x37800000
	v_lshlrev_b32_e32 v4, 21, v4
	v_or3_b32 v4, v5, v8, v4
	v_cvt_f64_f32_e32 v[4:5], v4
.LBB9_1252:
	s_or_b32 exec_lo, exec_lo, s5
	s_mov_b32 s4, 0
	s_branch .LBB9_1256
.LBB9_1253:
                                        ; implicit-def: $vgpr4_vgpr5
	s_mov_b32 s4, 0
	s_branch .LBB9_1262
.LBB9_1254:
	s_mov_b32 s4, -1
                                        ; implicit-def: $vgpr4_vgpr5
	s_branch .LBB9_1259
.LBB9_1255:
	s_mov_b32 s4, -1
                                        ; implicit-def: $vgpr4_vgpr5
.LBB9_1256:
	s_and_b32 vcc_lo, exec_lo, s4
	s_cbranch_vccz .LBB9_1258
; %bb.1257:
	global_load_ubyte v4, v[0:1], off
	s_waitcnt vmcnt(0)
	v_lshlrev_b32_e32 v4, 24, v4
	v_and_b32_e32 v5, 0x7f000000, v4
	v_ffbh_u32_e32 v8, v5
	v_add_nc_u32_e32 v12, 0x1000000, v5
	v_cmp_ne_u32_e32 vcc_lo, 0, v5
	v_min_u32_e32 v8, 32, v8
	v_sub_nc_u32_e64 v8, v8, 4 clamp
	v_lshlrev_b32_e32 v11, v8, v5
	v_lshlrev_b32_e32 v8, 23, v8
	v_lshrrev_b32_e32 v11, 4, v11
	v_sub_nc_u32_e32 v8, v11, v8
	v_ashrrev_i32_e32 v11, 8, v12
	v_add_nc_u32_e32 v8, 0x3c000000, v8
	v_and_or_b32 v8, 0x7f800000, v11, v8
	v_cndmask_b32_e32 v5, 0, v8, vcc_lo
	v_and_or_b32 v4, 0x80000000, v4, v5
	v_cvt_f64_f32_e32 v[4:5], v4
.LBB9_1258:
	s_mov_b32 s4, 0
.LBB9_1259:
	s_andn2_b32 vcc_lo, exec_lo, s4
	s_cbranch_vccnz .LBB9_1261
; %bb.1260:
	global_load_ubyte v4, v[0:1], off
	s_waitcnt vmcnt(0)
	v_lshlrev_b32_e32 v5, 25, v4
	v_lshlrev_b16 v4, 8, v4
	v_lshrrev_b32_e32 v8, 4, v5
	v_and_or_b32 v11, 0x7f00, v4, 0.5
	v_cmp_gt_u32_e32 vcc_lo, 0x8000000, v5
	v_bfe_i32 v4, v4, 0, 16
	v_or_b32_e32 v8, 0x70000000, v8
	v_add_f32_e32 v11, -0.5, v11
	v_mul_f32_e32 v8, 0x7800000, v8
	v_cndmask_b32_e32 v5, v8, v11, vcc_lo
	v_and_or_b32 v4, 0x80000000, v4, v5
	v_cvt_f64_f32_e32 v[4:5], v4
.LBB9_1261:
	s_mov_b32 s5, -1
	s_mov_b32 s4, 0
	s_cbranch_execnz .LBB9_1270
.LBB9_1262:
	s_cmp_gt_i32 s1, 14
	s_cbranch_scc0 .LBB9_1265
; %bb.1263:
	s_cmp_eq_u32 s1, 15
	s_cbranch_scc0 .LBB9_1266
; %bb.1264:
	global_load_ushort v4, v[0:1], off
	s_mov_b32 s3, 0
	s_mov_b32 s5, -1
	s_waitcnt vmcnt(0)
	v_lshlrev_b32_e32 v4, 16, v4
	v_cvt_f64_f32_e32 v[4:5], v4
	s_branch .LBB9_1268
.LBB9_1265:
	s_mov_b32 s4, -1
	s_branch .LBB9_1267
.LBB9_1266:
	s_mov_b32 s3, -1
.LBB9_1267:
                                        ; implicit-def: $vgpr4_vgpr5
.LBB9_1268:
	s_and_b32 vcc_lo, exec_lo, s4
	s_mov_b32 s4, 0
	s_cbranch_vccz .LBB9_1270
; %bb.1269:
	s_cmp_lg_u32 s1, 11
	s_mov_b32 s4, -1
	s_cselect_b32 s3, -1, 0
.LBB9_1270:
	s_and_b32 vcc_lo, exec_lo, s3
	s_mov_b32 s1, s12
	s_cbranch_vccnz .LBB9_1343
; %bb.1271:
	s_andn2_b32 vcc_lo, exec_lo, s4
	s_cbranch_vccnz .LBB9_1273
.LBB9_1272:
	global_load_ubyte v4, v[0:1], off
	s_mov_b32 s5, -1
	s_waitcnt vmcnt(0)
	v_cmp_ne_u16_e32 vcc_lo, 0, v4
	v_mov_b32_e32 v4, 0
	v_cndmask_b32_e64 v5, 0, 0x3ff00000, vcc_lo
.LBB9_1273:
	s_branch .LBB9_1202
.LBB9_1274:
	s_and_b32 s0, 0xffff, s0
	s_cmp_lt_i32 s0, 5
	s_cbranch_scc1 .LBB9_1279
; %bb.1275:
	s_cmp_lt_i32 s0, 8
	s_cbranch_scc1 .LBB9_1280
; %bb.1276:
	;; [unrolled: 3-line block ×3, first 2 shown]
	s_cmp_gt_i32 s0, 9
	s_cbranch_scc0 .LBB9_1282
; %bb.1278:
	global_load_dwordx2 v[4:5], v[0:1], off
	s_mov_b32 s3, 0
	s_branch .LBB9_1283
.LBB9_1279:
                                        ; implicit-def: $vgpr4_vgpr5
	s_branch .LBB9_1300
.LBB9_1280:
                                        ; implicit-def: $vgpr4_vgpr5
	s_branch .LBB9_1289
.LBB9_1281:
	s_mov_b32 s3, -1
                                        ; implicit-def: $vgpr4_vgpr5
	s_branch .LBB9_1286
.LBB9_1282:
	s_mov_b32 s3, -1
                                        ; implicit-def: $vgpr4_vgpr5
.LBB9_1283:
	s_andn2_b32 vcc_lo, exec_lo, s3
	s_cbranch_vccnz .LBB9_1285
; %bb.1284:
	global_load_dword v4, v[0:1], off
	s_waitcnt vmcnt(0)
	v_cvt_f64_f32_e32 v[4:5], v4
.LBB9_1285:
	s_mov_b32 s3, 0
.LBB9_1286:
	s_andn2_b32 vcc_lo, exec_lo, s3
	s_cbranch_vccnz .LBB9_1288
; %bb.1287:
	global_load_dword v4, v[0:1], off
	s_waitcnt vmcnt(0)
	v_cvt_f32_f16_e32 v4, v4
	v_cvt_f64_f32_e32 v[4:5], v4
.LBB9_1288:
	s_cbranch_execnz .LBB9_1299
.LBB9_1289:
	s_cmp_lt_i32 s0, 6
	s_cbranch_scc1 .LBB9_1292
; %bb.1290:
	s_cmp_gt_i32 s0, 6
	s_cbranch_scc0 .LBB9_1293
; %bb.1291:
	global_load_dwordx2 v[4:5], v[0:1], off
	s_mov_b32 s3, 0
	s_branch .LBB9_1294
.LBB9_1292:
	s_mov_b32 s3, -1
                                        ; implicit-def: $vgpr4_vgpr5
	s_branch .LBB9_1297
.LBB9_1293:
	s_mov_b32 s3, -1
                                        ; implicit-def: $vgpr4_vgpr5
.LBB9_1294:
	s_andn2_b32 vcc_lo, exec_lo, s3
	s_cbranch_vccnz .LBB9_1296
; %bb.1295:
	global_load_dword v4, v[0:1], off
	s_waitcnt vmcnt(0)
	v_cvt_f64_f32_e32 v[4:5], v4
.LBB9_1296:
	s_mov_b32 s3, 0
.LBB9_1297:
	s_andn2_b32 vcc_lo, exec_lo, s3
	s_cbranch_vccnz .LBB9_1299
; %bb.1298:
	global_load_ushort v4, v[0:1], off
	s_waitcnt vmcnt(0)
	v_cvt_f32_f16_e32 v4, v4
	v_cvt_f64_f32_e32 v[4:5], v4
.LBB9_1299:
	s_cbranch_execnz .LBB9_1318
.LBB9_1300:
	s_cmp_lt_i32 s0, 2
	s_cbranch_scc1 .LBB9_1304
; %bb.1301:
	s_cmp_lt_i32 s0, 3
	s_cbranch_scc1 .LBB9_1305
; %bb.1302:
	s_cmp_gt_i32 s0, 3
	s_cbranch_scc0 .LBB9_1306
; %bb.1303:
	global_load_dwordx2 v[4:5], v[0:1], off
	s_mov_b32 s3, 0
	s_waitcnt vmcnt(0)
	v_cvt_f64_i32_e32 v[11:12], v5
	v_cvt_f64_u32_e32 v[4:5], v4
	v_ldexp_f64 v[11:12], v[11:12], 32
	v_add_f64 v[4:5], v[11:12], v[4:5]
	s_branch .LBB9_1307
.LBB9_1304:
                                        ; implicit-def: $vgpr4_vgpr5
	s_branch .LBB9_1313
.LBB9_1305:
	s_mov_b32 s3, -1
                                        ; implicit-def: $vgpr4_vgpr5
	s_branch .LBB9_1310
.LBB9_1306:
	s_mov_b32 s3, -1
                                        ; implicit-def: $vgpr4_vgpr5
.LBB9_1307:
	s_andn2_b32 vcc_lo, exec_lo, s3
	s_cbranch_vccnz .LBB9_1309
; %bb.1308:
	global_load_dword v4, v[0:1], off
	s_waitcnt vmcnt(0)
	v_cvt_f64_i32_e32 v[4:5], v4
.LBB9_1309:
	s_mov_b32 s3, 0
.LBB9_1310:
	s_andn2_b32 vcc_lo, exec_lo, s3
	s_cbranch_vccnz .LBB9_1312
; %bb.1311:
	global_load_sshort v4, v[0:1], off
	s_waitcnt vmcnt(0)
	v_cvt_f64_i32_e32 v[4:5], v4
.LBB9_1312:
	s_cbranch_execnz .LBB9_1318
.LBB9_1313:
	s_cmp_gt_i32 s0, 0
	s_mov_b32 s0, 0
	s_cbranch_scc0 .LBB9_1315
; %bb.1314:
	global_load_sbyte v4, v[0:1], off
	s_waitcnt vmcnt(0)
	v_cvt_f64_i32_e32 v[4:5], v4
	s_branch .LBB9_1316
.LBB9_1315:
	s_mov_b32 s0, -1
                                        ; implicit-def: $vgpr4_vgpr5
.LBB9_1316:
	s_andn2_b32 vcc_lo, exec_lo, s0
	s_cbranch_vccnz .LBB9_1318
; %bb.1317:
	global_load_ubyte v0, v[0:1], off
	s_waitcnt vmcnt(0)
	v_cvt_f64_u32_e32 v[4:5], v0
.LBB9_1318:
.LBB9_1319:
	s_waitcnt vmcnt(0)
	v_cmp_ge_f64_e64 s0, 0x40200000, |v[4:5]|
                                        ; implicit-def: $vgpr0_vgpr1
	s_and_saveexec_b32 s3, s0
	s_xor_b32 s0, exec_lo, s3
	s_cbranch_execz .LBB9_1325
; %bb.1320:
	v_fma_f64 v[0:1], |v[4:5]|, 0.5, -2.0
	s_mov_b32 s4, 0xc38a0576
	s_mov_b32 s5, 0xbc7857d0
	;; [unrolled: 1-line block ×4, first 2 shown]
	s_mov_b32 s3, exec_lo
	v_fma_f64 v[11:12], v[0:1], s[6:7], s[4:5]
	s_mov_b32 s7, 0xbc499f2a
	s_mov_b32 s4, 0xe593bfac
	;; [unrolled: 1-line block ×3, first 2 shown]
	v_fma_f64 v[15:16], v[0:1], v[11:12], s[6:7]
	s_mov_b32 s6, 0x3b39803f
	s_mov_b32 s7, 0xbc7abc9e
	v_add_f64 v[15:16], v[15:16], s[4:5]
	s_mov_b32 s4, 0x7e0d1573
	s_mov_b32 s5, 0xbcd3eaaa
	v_fma_f64 v[11:12], v[0:1], v[15:16], -v[11:12]
	v_add_f64 v[11:12], v[11:12], s[4:5]
	s_mov_b32 s4, 0x615290c
	s_mov_b32 s5, 0x3d011d7f
	v_fma_f64 v[15:16], v[0:1], v[11:12], -v[15:16]
	;; [unrolled: 4-line block ×20, first 2 shown]
	v_add_f64 v[15:16], v[15:16], s[4:5]
	s_mov_b32 s4, 0x652b82fe
	s_mov_b32 s5, 0x3ff71547
	v_mul_f64 v[17:18], |v[4:5]|, s[4:5]
	s_mov_b32 s4, 0x7913a26a
	s_mov_b32 s5, 0xbf85a29f
	v_fma_f64 v[11:12], v[0:1], v[15:16], -v[11:12]
	v_rndne_f64_e32 v[17:18], v[17:18]
	v_add_f64 v[11:12], v[11:12], s[4:5]
	s_mov_b32 s4, 0xfefa39ef
	s_mov_b32 s5, 0xbfe62e42
	v_fma_f64 v[19:20], v[17:18], s[4:5], |v[4:5]|
	s_mov_b32 s4, 0xe7bb2349
	s_mov_b32 s5, 0x3f9951e3
	v_cvt_i32_f64_e32 v8, v[17:18]
	v_fma_f64 v[15:16], v[0:1], v[11:12], -v[15:16]
	v_fma_f64 v[19:20], v[17:18], s[6:7], v[19:20]
	s_mov_b32 s6, 0x6a5dcb37
	s_mov_b32 s7, 0x3e5ade15
	v_add_f64 v[15:16], v[15:16], s[4:5]
	s_mov_b32 s4, 0xfca7ab0c
	s_mov_b32 s5, 0x3e928af3
	v_fma_f64 v[21:22], v[19:20], s[6:7], s[4:5]
	s_mov_b32 s4, 0x537c9ebc
	s_mov_b32 s6, 0x623fde64
	;; [unrolled: 1-line block ×4, first 2 shown]
	v_fma_f64 v[11:12], v[0:1], v[15:16], -v[11:12]
	v_fma_f64 v[21:22], v[19:20], v[21:22], s[6:7]
	s_mov_b32 s6, 0x14761f6e
	s_mov_b32 s7, 0x3f2a01a0
	v_add_f64 v[11:12], v[11:12], s[4:5]
	s_mov_b32 s4, 0x7c89e6b0
	s_mov_b32 s5, 0x3efa0199
	v_fma_f64 v[21:22], v[19:20], v[21:22], s[4:5]
	s_mov_b32 s4, 0xd536f53c
	s_mov_b32 s5, 0x3fba46da
	v_fma_f64 v[15:16], v[0:1], v[11:12], -v[15:16]
	v_fma_f64 v[21:22], v[19:20], v[21:22], s[6:7]
	s_mov_b32 s6, 0x11122322
	s_mov_b32 s7, 0x3f811111
	v_add_f64 v[15:16], v[15:16], s[4:5]
	s_mov_b32 s4, 0x1852b7b0
	s_mov_b32 s5, 0x3f56c16c
	v_fma_f64 v[21:22], v[19:20], v[21:22], s[4:5]
	s_mov_b32 s4, 0x469192e
	s_mov_b32 s5, 0xbfc694d1
	;; [unrolled: 10-line block ×3, first 2 shown]
	v_fma_f64 v[0:1], v[0:1], v[11:12], -v[15:16]
	v_fma_f64 v[11:12], v[19:20], v[21:22], s[6:7]
	v_add_f64 v[0:1], v[0:1], s[4:5]
	s_mov_b32 s4, 11
	s_mov_b32 s5, 0x3fe00000
	v_fma_f64 v[11:12], v[19:20], v[11:12], s[4:5]
	v_add_f64 v[0:1], v[0:1], -v[15:16]
	v_fma_f64 v[11:12], v[19:20], v[11:12], 1.0
	v_mul_f64 v[0:1], v[0:1], 0.5
	v_fma_f64 v[15:16], v[19:20], v[11:12], 1.0
	v_mul_f64 v[11:12], |v[4:5]|, v[0:1]
                                        ; implicit-def: $vgpr0_vgpr1
	v_cmpx_ngt_f64_e32 0, v[4:5]
	s_xor_b32 s3, exec_lo, s3
	s_cbranch_execz .LBB9_1322
; %bb.1321:
	v_ldexp_f64 v[0:1], v[15:16], v8
	v_cmp_nlt_f64_e64 vcc_lo, 0x40900000, |v[4:5]|
                                        ; implicit-def: $vgpr15_vgpr16
                                        ; implicit-def: $vgpr8
                                        ; implicit-def: $vgpr4_vgpr5
	v_cndmask_b32_e32 v1, 0x7ff00000, v1, vcc_lo
	v_cndmask_b32_e32 v0, 0, v0, vcc_lo
	v_mul_f64 v[0:1], v[0:1], v[11:12]
                                        ; implicit-def: $vgpr11_vgpr12
.LBB9_1322:
	s_andn2_saveexec_b32 s3, s3
	s_cbranch_execz .LBB9_1324
; %bb.1323:
	v_ldexp_f64 v[0:1], -v[15:16], v8
	v_cmp_nlt_f64_e64 vcc_lo, 0x40900000, |v[4:5]|
	v_cndmask_b32_e32 v1, 0xfff00000, v1, vcc_lo
	v_cndmask_b32_e32 v0, 0, v0, vcc_lo
	v_mul_f64 v[0:1], v[0:1], v[11:12]
.LBB9_1324:
	s_or_b32 exec_lo, exec_lo, s3
                                        ; implicit-def: $vgpr4_vgpr5
.LBB9_1325:
	s_andn2_saveexec_b32 s3, s0
	s_cbranch_execz .LBB9_1331
; %bb.1326:
	v_and_b32_e32 v1, 0x7fffffff, v5
	v_mov_b32_e32 v0, v4
	s_mov_b32 s4, 0xea87b950
	s_mov_b32 s5, 0x3c545b8a
	;; [unrolled: 1-line block ×4, first 2 shown]
	v_div_scale_f64 v[11:12], null, v[0:1], v[0:1], 0x40400000
	v_div_scale_f64 v[0:1], vcc_lo, 0x40400000, v[0:1], 0x40400000
	v_cmp_ngt_f64_e64 s0, 0, v[4:5]
	v_rcp_f64_e32 v[15:16], v[11:12]
	v_fma_f64 v[17:18], -v[11:12], v[15:16], 1.0
	v_fma_f64 v[15:16], v[15:16], v[17:18], v[15:16]
	v_fma_f64 v[17:18], -v[11:12], v[15:16], 1.0
	v_fma_f64 v[15:16], v[15:16], v[17:18], v[15:16]
	v_mul_f64 v[17:18], v[0:1], v[15:16]
	v_fma_f64 v[0:1], -v[11:12], v[17:18], v[0:1]
	v_div_fmas_f64 v[0:1], v[0:1], v[15:16], v[17:18]
	v_cmp_nlt_f64_e64 vcc_lo, 0x40900000, |v[4:5]|
	v_div_fixup_f64 v[0:1], v[0:1], |v[4:5]|, 0x40400000
	v_add_f64 v[0:1], v[0:1], -2.0
	v_fma_f64 v[11:12], v[0:1], s[6:7], s[4:5]
	s_mov_b32 s7, 0xbc61556d
	s_mov_b32 s4, 0xb2532277
	;; [unrolled: 1-line block ×3, first 2 shown]
	v_fma_f64 v[15:16], v[0:1], v[11:12], s[6:7]
	s_mov_b32 s6, 0x6a5dcb37
	s_mov_b32 s7, 0x3e5ade15
	v_add_f64 v[15:16], v[15:16], s[4:5]
	s_mov_b32 s4, 0x9c773320
	s_mov_b32 s5, 0xbc82806c
	v_fma_f64 v[11:12], v[0:1], v[15:16], -v[11:12]
	v_add_f64 v[11:12], v[11:12], s[4:5]
	s_mov_b32 s4, 0xfceb588a
	s_mov_b32 s5, 0x3cb55915
	v_fma_f64 v[15:16], v[0:1], v[11:12], -v[15:16]
	;; [unrolled: 4-line block ×14, first 2 shown]
	v_add_f64 v[15:16], v[15:16], s[4:5]
	s_mov_b32 s4, 0x652b82fe
	s_mov_b32 s5, 0x3ff71547
	v_mul_f64 v[17:18], |v[4:5]|, s[4:5]
	s_mov_b32 s4, 0x5423dd80
	s_mov_b32 s5, 0xbe0334ca
	v_fma_f64 v[11:12], v[0:1], v[15:16], -v[11:12]
	v_rndne_f64_e32 v[17:18], v[17:18]
	v_add_f64 v[11:12], v[11:12], s[4:5]
	s_mov_b32 s4, 0xfefa39ef
	s_mov_b32 s5, 0xbfe62e42
	v_fma_f64 v[19:20], v[17:18], s[4:5], |v[4:5]|
	s_mov_b32 s4, 0x9ad53528
	s_mov_b32 s5, 0xbe30790b
	v_cvt_i32_f64_e32 v8, v[17:18]
	v_fma_f64 v[15:16], v[0:1], v[11:12], -v[15:16]
	v_add_f64 v[15:16], v[15:16], s[4:5]
	s_mov_b32 s4, 0x3b39803f
	s_mov_b32 s5, 0xbc7abc9e
	v_fma_f64 v[19:20], v[17:18], s[4:5], v[19:20]
	s_mov_b32 s4, 0xfca7ab0c
	s_mov_b32 s5, 0x3e928af3
	v_fma_f64 v[11:12], v[0:1], v[15:16], -v[11:12]
	v_fma_f64 v[21:22], v[19:20], s[6:7], s[4:5]
	s_mov_b32 s4, 0x94bb46c1
	s_mov_b32 s5, 0xbe5c4153
	v_add_f64 v[11:12], v[11:12], s[4:5]
	s_mov_b32 s4, 0x623fde64
	s_mov_b32 s5, 0x3ec71dee
	v_fma_f64 v[21:22], v[19:20], v[21:22], s[4:5]
	s_mov_b32 s4, 0x7c89e6b0
	s_mov_b32 s5, 0x3efa0199
	v_fma_f64 v[15:16], v[0:1], v[11:12], -v[15:16]
	v_fma_f64 v[21:22], v[19:20], v[21:22], s[4:5]
	s_mov_b32 s4, 0x2e9e5443
	s_mov_b32 s5, 0xbe90dbfd
	;; [unrolled: 10-line block ×5, first 2 shown]
	v_add_f64 v[11:12], v[11:12], s[4:5]
	s_mov_b32 s4, 0xb55b1514
	s_mov_b32 s5, 0x3fe8ea18
	v_fma_f64 v[21:22], v[19:20], v[21:22], 1.0
	v_fma_f64 v[0:1], v[0:1], v[11:12], -v[15:16]
	v_fma_f64 v[11:12], v[19:20], v[21:22], 1.0
	v_add_f64 v[0:1], v[0:1], s[4:5]
	v_ldexp_f64 v[11:12], v[11:12], v8
	v_add_f64 v[15:16], v[0:1], -v[15:16]
                                        ; implicit-def: $vgpr0_vgpr1
	v_cndmask_b32_e32 v12, 0x7ff00000, v12, vcc_lo
	v_cndmask_b32_e32 v11, 0, v11, vcc_lo
	s_and_saveexec_b32 s4, s0
	s_xor_b32 s0, exec_lo, s4
	s_cbranch_execz .LBB9_1328
; %bb.1327:
	v_cmp_gt_f64_e64 s4, 0x10000000, |v[4:5]|
	v_mul_f64 v[15:16], v[15:16], 0.5
	v_cndmask_b32_e64 v0, 0, 0x100, s4
	v_cndmask_b32_e64 v8, 0, 0xffffff80, s4
	v_mul_f64 v[11:12], v[11:12], v[15:16]
	v_ldexp_f64 v[0:1], |v[4:5]|, v0
	v_rsq_f64_e32 v[4:5], v[0:1]
	v_cmp_class_f64_e64 vcc_lo, v[0:1], 0x260
	v_mul_f64 v[17:18], v[0:1], v[4:5]
	v_mul_f64 v[4:5], v[4:5], 0.5
	v_fma_f64 v[19:20], -v[4:5], v[17:18], 0.5
	v_fma_f64 v[17:18], v[17:18], v[19:20], v[17:18]
	v_fma_f64 v[4:5], v[4:5], v[19:20], v[4:5]
	v_fma_f64 v[19:20], -v[17:18], v[17:18], v[0:1]
	v_fma_f64 v[17:18], v[19:20], v[4:5], v[17:18]
	v_fma_f64 v[19:20], -v[17:18], v[17:18], v[0:1]
	v_fma_f64 v[4:5], v[19:20], v[4:5], v[17:18]
	v_ldexp_f64 v[4:5], v[4:5], v8
	v_cndmask_b32_e32 v1, v5, v1, vcc_lo
	v_cndmask_b32_e32 v0, v4, v0, vcc_lo
	v_div_scale_f64 v[4:5], null, v[0:1], v[0:1], v[11:12]
	v_rcp_f64_e32 v[15:16], v[4:5]
	v_fma_f64 v[17:18], -v[4:5], v[15:16], 1.0
	v_fma_f64 v[15:16], v[15:16], v[17:18], v[15:16]
	v_fma_f64 v[17:18], -v[4:5], v[15:16], 1.0
	v_fma_f64 v[15:16], v[15:16], v[17:18], v[15:16]
	v_div_scale_f64 v[17:18], vcc_lo, v[11:12], v[0:1], v[11:12]
	v_mul_f64 v[19:20], v[17:18], v[15:16]
	v_fma_f64 v[4:5], -v[4:5], v[19:20], v[17:18]
	v_div_fmas_f64 v[4:5], v[4:5], v[15:16], v[19:20]
                                        ; implicit-def: $vgpr15_vgpr16
	v_div_fixup_f64 v[0:1], v[4:5], v[0:1], v[11:12]
                                        ; implicit-def: $vgpr4_vgpr5
                                        ; implicit-def: $vgpr11_vgpr12
.LBB9_1328:
	s_andn2_saveexec_b32 s0, s0
	s_cbranch_execz .LBB9_1330
; %bb.1329:
	v_cmp_gt_f64_e64 s4, 0x10000000, |v[4:5]|
	v_mul_f64 v[15:16], v[15:16], -0.5
	v_cndmask_b32_e64 v0, 0, 0x100, s4
	v_cndmask_b32_e64 v8, 0, 0xffffff80, s4
	v_mul_f64 v[11:12], v[11:12], v[15:16]
	v_ldexp_f64 v[0:1], |v[4:5]|, v0
	v_rsq_f64_e32 v[4:5], v[0:1]
	v_cmp_class_f64_e64 vcc_lo, v[0:1], 0x260
	v_mul_f64 v[17:18], v[0:1], v[4:5]
	v_mul_f64 v[4:5], v[4:5], 0.5
	v_fma_f64 v[19:20], -v[4:5], v[17:18], 0.5
	v_fma_f64 v[17:18], v[17:18], v[19:20], v[17:18]
	v_fma_f64 v[4:5], v[4:5], v[19:20], v[4:5]
	v_fma_f64 v[19:20], -v[17:18], v[17:18], v[0:1]
	v_fma_f64 v[17:18], v[19:20], v[4:5], v[17:18]
	v_fma_f64 v[19:20], -v[17:18], v[17:18], v[0:1]
	v_fma_f64 v[4:5], v[19:20], v[4:5], v[17:18]
	v_ldexp_f64 v[4:5], v[4:5], v8
	v_cndmask_b32_e32 v1, v5, v1, vcc_lo
	v_cndmask_b32_e32 v0, v4, v0, vcc_lo
	v_div_scale_f64 v[4:5], null, v[0:1], v[0:1], v[11:12]
	v_rcp_f64_e32 v[15:16], v[4:5]
	v_fma_f64 v[17:18], -v[4:5], v[15:16], 1.0
	v_fma_f64 v[15:16], v[15:16], v[17:18], v[15:16]
	v_fma_f64 v[17:18], -v[4:5], v[15:16], 1.0
	v_fma_f64 v[15:16], v[15:16], v[17:18], v[15:16]
	v_div_scale_f64 v[17:18], vcc_lo, v[11:12], v[0:1], v[11:12]
	v_mul_f64 v[19:20], v[17:18], v[15:16]
	v_fma_f64 v[4:5], -v[4:5], v[19:20], v[17:18]
	v_div_fmas_f64 v[4:5], v[4:5], v[15:16], v[19:20]
	v_div_fixup_f64 v[0:1], v[4:5], v[0:1], v[11:12]
.LBB9_1330:
	s_or_b32 exec_lo, exec_lo, s0
.LBB9_1331:
	s_or_b32 exec_lo, exec_lo, s3
	v_add_co_u32 v4, s3, s10, v9
	s_lshr_b32 s0, s2, 16
	v_add_co_ci_u32_e64 v5, null, s11, 0, s3
	s_and_b32 s3, s0, 0xff
	s_cmp_lt_i32 s3, 11
	s_cbranch_scc1 .LBB9_1338
; %bb.1332:
	s_and_b32 s0, 0xffff, s3
	s_mov_b32 s5, 0
	s_cmp_gt_i32 s0, 25
	s_cbranch_scc0 .LBB9_1340
; %bb.1333:
	s_cmp_gt_i32 s0, 28
	s_cbranch_scc0 .LBB9_1341
; %bb.1334:
	;; [unrolled: 3-line block ×4, first 2 shown]
	s_cmp_eq_u32 s0, 46
	s_mov_b32 s7, 0
	s_cbranch_scc0 .LBB9_1347
; %bb.1337:
	global_load_dword v8, v[4:5], off
	s_mov_b32 s4, 0
	s_mov_b32 s6, -1
	s_waitcnt vmcnt(0)
	v_lshlrev_b32_e32 v8, 16, v8
	v_cvt_f64_f32_e32 v[8:9], v8
	s_branch .LBB9_1349
.LBB9_1338:
	s_mov_b32 s6, 0
                                        ; implicit-def: $vgpr8_vgpr9
	s_cbranch_execnz .LBB9_1414
.LBB9_1339:
	s_andn2_b32 vcc_lo, exec_lo, s6
	s_cbranch_vccnz .LBB9_1836
	s_branch .LBB9_1461
.LBB9_1340:
	s_mov_b32 s6, 0
	s_mov_b32 s4, 0
                                        ; implicit-def: $vgpr8_vgpr9
	s_cbranch_execnz .LBB9_1380
	s_branch .LBB9_1410
.LBB9_1341:
	s_mov_b32 s7, -1
	s_mov_b32 s6, 0
	s_mov_b32 s4, 0
                                        ; implicit-def: $vgpr8_vgpr9
	s_branch .LBB9_1359
.LBB9_1342:
	s_mov_b32 s7, -1
	s_mov_b32 s6, 0
	s_mov_b32 s4, 0
                                        ; implicit-def: $vgpr8_vgpr9
	s_branch .LBB9_1354
.LBB9_1343:
	s_or_b32 s1, s12, exec_lo
	s_trap 2
	s_cbranch_execz .LBB9_1272
	s_branch .LBB9_1273
.LBB9_1344:
	s_mov_b32 s7, -1
	s_mov_b32 s6, 0
	s_mov_b32 s4, 0
	s_branch .LBB9_1348
.LBB9_1345:
	s_andn2_saveexec_b32 s12, s12
	s_cbranch_execz .LBB9_1062
.LBB9_1346:
	v_add_f32_e64 v3, 0x42800000, |v2|
	s_andn2_b32 s11, s11, exec_lo
	v_and_b32_e32 v3, 0xff, v3
	v_cmp_ne_u32_e32 vcc_lo, 0, v3
	s_and_b32 s13, vcc_lo, exec_lo
	s_or_b32 s11, s11, s13
	s_or_b32 exec_lo, exec_lo, s12
	v_mov_b32_e32 v4, 0
	s_and_saveexec_b32 s12, s11
	s_cbranch_execnz .LBB9_1063
	s_branch .LBB9_1064
.LBB9_1347:
	s_mov_b32 s4, -1
	s_mov_b32 s6, 0
.LBB9_1348:
                                        ; implicit-def: $vgpr8_vgpr9
.LBB9_1349:
	s_and_b32 vcc_lo, exec_lo, s7
	s_cbranch_vccz .LBB9_1353
; %bb.1350:
	s_cmp_eq_u32 s0, 44
	s_cbranch_scc0 .LBB9_1352
; %bb.1351:
	global_load_ubyte v11, v[4:5], off
	s_mov_b32 s4, 0
	s_mov_b32 s6, -1
	s_waitcnt vmcnt(0)
	v_lshlrev_b32_e32 v8, 23, v11
	v_cmp_ne_u32_e32 vcc_lo, 0xff, v11
	v_cvt_f64_f32_e32 v[8:9], v8
	v_cndmask_b32_e32 v8, 0x20000000, v8, vcc_lo
	v_cndmask_b32_e32 v9, 0x7ff80000, v9, vcc_lo
	v_cmp_ne_u32_e32 vcc_lo, 0, v11
	v_cndmask_b32_e32 v9, 0x38000000, v9, vcc_lo
	v_cndmask_b32_e32 v8, 0, v8, vcc_lo
	s_branch .LBB9_1353
.LBB9_1352:
	s_mov_b32 s4, -1
                                        ; implicit-def: $vgpr8_vgpr9
.LBB9_1353:
	s_mov_b32 s7, 0
.LBB9_1354:
	s_and_b32 vcc_lo, exec_lo, s7
	s_cbranch_vccz .LBB9_1358
; %bb.1355:
	s_cmp_eq_u32 s0, 29
	s_cbranch_scc0 .LBB9_1357
; %bb.1356:
	global_load_dwordx2 v[8:9], v[4:5], off
	s_mov_b32 s4, 0
	s_mov_b32 s6, -1
	s_mov_b32 s7, 0
	s_waitcnt vmcnt(0)
	v_cvt_f64_u32_e32 v[11:12], v9
	v_cvt_f64_u32_e32 v[8:9], v8
	v_ldexp_f64 v[11:12], v[11:12], 32
	v_add_f64 v[8:9], v[11:12], v[8:9]
	s_branch .LBB9_1359
.LBB9_1357:
	s_mov_b32 s4, -1
                                        ; implicit-def: $vgpr8_vgpr9
.LBB9_1358:
	s_mov_b32 s7, 0
.LBB9_1359:
	s_and_b32 vcc_lo, exec_lo, s7
	s_cbranch_vccz .LBB9_1379
; %bb.1360:
	s_cmp_lt_i32 s0, 27
	s_cbranch_scc1 .LBB9_1363
; %bb.1361:
	s_cmp_gt_i32 s0, 27
	s_cbranch_scc0 .LBB9_1364
; %bb.1362:
	global_load_dword v8, v[4:5], off
	s_mov_b32 s6, 0
	s_waitcnt vmcnt(0)
	v_cvt_f64_u32_e32 v[8:9], v8
	s_branch .LBB9_1365
.LBB9_1363:
	s_mov_b32 s6, -1
                                        ; implicit-def: $vgpr8_vgpr9
	s_branch .LBB9_1368
.LBB9_1364:
	s_mov_b32 s6, -1
                                        ; implicit-def: $vgpr8_vgpr9
.LBB9_1365:
	s_andn2_b32 vcc_lo, exec_lo, s6
	s_cbranch_vccnz .LBB9_1367
; %bb.1366:
	global_load_ushort v8, v[4:5], off
	s_waitcnt vmcnt(0)
	v_cvt_f64_u32_e32 v[8:9], v8
.LBB9_1367:
	s_mov_b32 s6, 0
.LBB9_1368:
	s_andn2_b32 vcc_lo, exec_lo, s6
	s_cbranch_vccnz .LBB9_1378
; %bb.1369:
	global_load_ubyte v11, v[4:5], off
	s_mov_b32 s6, 0
	s_mov_b32 s7, exec_lo
	s_waitcnt vmcnt(0)
	v_cmpx_lt_i16_e32 0x7f, v11
	s_xor_b32 s7, exec_lo, s7
	s_cbranch_execz .LBB9_1373
; %bb.1370:
	s_mov_b32 s6, -1
	s_mov_b32 s14, exec_lo
	v_cmpx_eq_u16_e32 0x80, v11
; %bb.1371:
	s_xor_b32 s6, exec_lo, -1
; %bb.1372:
	s_or_b32 exec_lo, exec_lo, s14
	s_and_b32 s6, s6, exec_lo
.LBB9_1373:
	s_or_saveexec_b32 s7, s7
	v_bfrev_b32_e32 v8, 4
	v_mov_b32_e32 v9, 0x7ff80000
	s_xor_b32 exec_lo, exec_lo, s7
; %bb.1374:
	v_cmp_ne_u16_e32 vcc_lo, 0, v11
	v_mov_b32_e32 v8, 0
	v_mov_b32_e32 v9, 0
	s_andn2_b32 s6, s6, exec_lo
	s_and_b32 s14, vcc_lo, exec_lo
	s_or_b32 s6, s6, s14
; %bb.1375:
	s_or_b32 exec_lo, exec_lo, s7
	s_and_saveexec_b32 s7, s6
	s_cbranch_execz .LBB9_1377
; %bb.1376:
	v_and_b32_e32 v8, 0xffff, v11
	v_lshlrev_b32_e32 v11, 24, v11
	v_and_b32_e32 v9, 7, v8
	v_bfe_u32 v15, v8, 3, 4
	v_ffbh_u32_e32 v12, v9
	v_cmp_eq_u32_e32 vcc_lo, 0, v15
	v_min_u32_e32 v12, 32, v12
	v_subrev_nc_u32_e32 v13, 28, v12
	v_sub_nc_u32_e32 v12, 29, v12
	v_lshlrev_b32_e32 v8, v13, v8
	v_cndmask_b32_e32 v12, v15, v12, vcc_lo
	v_and_b32_e32 v8, 7, v8
	v_cndmask_b32_e32 v8, v9, v8, vcc_lo
	v_and_b32_e32 v9, 0x80000000, v11
	v_lshl_add_u32 v11, v12, 23, 0x3b800000
	v_lshlrev_b32_e32 v8, 20, v8
	v_or3_b32 v8, v9, v11, v8
	v_cvt_f64_f32_e32 v[8:9], v8
.LBB9_1377:
	s_or_b32 exec_lo, exec_lo, s7
.LBB9_1378:
	s_mov_b32 s6, -1
.LBB9_1379:
	s_branch .LBB9_1410
.LBB9_1380:
	s_cmp_gt_i32 s0, 22
	s_cbranch_scc0 .LBB9_1392
; %bb.1381:
	s_cmp_lt_i32 s0, 24
	s_cbranch_scc1 .LBB9_1393
; %bb.1382:
	s_cmp_gt_i32 s0, 24
	s_cbranch_scc0 .LBB9_1394
; %bb.1383:
	global_load_ubyte v11, v[4:5], off
	s_mov_b32 s6, exec_lo
	s_waitcnt vmcnt(0)
	v_cmpx_lt_i16_e32 0x7f, v11
	s_xor_b32 s6, exec_lo, s6
	s_cbranch_execz .LBB9_1387
; %bb.1384:
	s_mov_b32 s5, -1
	s_mov_b32 s7, exec_lo
	v_cmpx_eq_u16_e32 0x80, v11
; %bb.1385:
	s_xor_b32 s5, exec_lo, -1
; %bb.1386:
	s_or_b32 exec_lo, exec_lo, s7
	s_and_b32 s5, s5, exec_lo
.LBB9_1387:
	s_or_saveexec_b32 s6, s6
	v_bfrev_b32_e32 v8, 4
	v_mov_b32_e32 v9, 0x7ff80000
	s_xor_b32 exec_lo, exec_lo, s6
; %bb.1388:
	v_cmp_ne_u16_e32 vcc_lo, 0, v11
	v_mov_b32_e32 v8, 0
	v_mov_b32_e32 v9, 0
	s_andn2_b32 s5, s5, exec_lo
	s_and_b32 s7, vcc_lo, exec_lo
	s_or_b32 s5, s5, s7
; %bb.1389:
	s_or_b32 exec_lo, exec_lo, s6
	s_and_saveexec_b32 s6, s5
	s_cbranch_execz .LBB9_1391
; %bb.1390:
	v_and_b32_e32 v8, 0xffff, v11
	v_lshlrev_b32_e32 v11, 24, v11
	v_and_b32_e32 v9, 3, v8
	v_bfe_u32 v15, v8, 2, 5
	v_ffbh_u32_e32 v12, v9
	v_cmp_eq_u32_e32 vcc_lo, 0, v15
	v_min_u32_e32 v12, 32, v12
	v_subrev_nc_u32_e32 v13, 29, v12
	v_sub_nc_u32_e32 v12, 30, v12
	v_lshlrev_b32_e32 v8, v13, v8
	v_cndmask_b32_e32 v12, v15, v12, vcc_lo
	v_and_b32_e32 v8, 3, v8
	v_cndmask_b32_e32 v8, v9, v8, vcc_lo
	v_and_b32_e32 v9, 0x80000000, v11
	v_lshl_add_u32 v11, v12, 23, 0x37800000
	v_lshlrev_b32_e32 v8, 21, v8
	v_or3_b32 v8, v9, v11, v8
	v_cvt_f64_f32_e32 v[8:9], v8
.LBB9_1391:
	s_or_b32 exec_lo, exec_lo, s6
	s_mov_b32 s5, 0
	s_branch .LBB9_1395
.LBB9_1392:
	s_mov_b32 s5, -1
                                        ; implicit-def: $vgpr8_vgpr9
	s_branch .LBB9_1401
.LBB9_1393:
	s_mov_b32 s5, -1
                                        ; implicit-def: $vgpr8_vgpr9
	s_branch .LBB9_1398
.LBB9_1394:
	s_mov_b32 s5, -1
                                        ; implicit-def: $vgpr8_vgpr9
.LBB9_1395:
	s_and_b32 vcc_lo, exec_lo, s5
	s_cbranch_vccz .LBB9_1397
; %bb.1396:
	global_load_ubyte v8, v[4:5], off
	s_waitcnt vmcnt(0)
	v_lshlrev_b32_e32 v8, 24, v8
	v_and_b32_e32 v9, 0x7f000000, v8
	v_ffbh_u32_e32 v11, v9
	v_add_nc_u32_e32 v13, 0x1000000, v9
	v_cmp_ne_u32_e32 vcc_lo, 0, v9
	v_min_u32_e32 v11, 32, v11
	v_sub_nc_u32_e64 v11, v11, 4 clamp
	v_lshlrev_b32_e32 v12, v11, v9
	v_lshlrev_b32_e32 v11, 23, v11
	v_lshrrev_b32_e32 v12, 4, v12
	v_sub_nc_u32_e32 v11, v12, v11
	v_ashrrev_i32_e32 v12, 8, v13
	v_add_nc_u32_e32 v11, 0x3c000000, v11
	v_and_or_b32 v11, 0x7f800000, v12, v11
	v_cndmask_b32_e32 v9, 0, v11, vcc_lo
	v_and_or_b32 v8, 0x80000000, v8, v9
	v_cvt_f64_f32_e32 v[8:9], v8
.LBB9_1397:
	s_mov_b32 s5, 0
.LBB9_1398:
	s_andn2_b32 vcc_lo, exec_lo, s5
	s_cbranch_vccnz .LBB9_1400
; %bb.1399:
	global_load_ubyte v8, v[4:5], off
	s_waitcnt vmcnt(0)
	v_lshlrev_b32_e32 v9, 25, v8
	v_lshlrev_b16 v8, 8, v8
	v_lshrrev_b32_e32 v11, 4, v9
	v_and_or_b32 v12, 0x7f00, v8, 0.5
	v_cmp_gt_u32_e32 vcc_lo, 0x8000000, v9
	v_bfe_i32 v8, v8, 0, 16
	v_or_b32_e32 v11, 0x70000000, v11
	v_add_f32_e32 v12, -0.5, v12
	v_mul_f32_e32 v11, 0x7800000, v11
	v_cndmask_b32_e32 v9, v11, v12, vcc_lo
	v_and_or_b32 v8, 0x80000000, v8, v9
	v_cvt_f64_f32_e32 v[8:9], v8
.LBB9_1400:
	s_mov_b32 s5, 0
	s_mov_b32 s6, -1
.LBB9_1401:
	s_andn2_b32 vcc_lo, exec_lo, s5
	s_mov_b32 s5, 0
	s_cbranch_vccnz .LBB9_1410
; %bb.1402:
	s_cmp_gt_i32 s0, 14
	s_cbranch_scc0 .LBB9_1405
; %bb.1403:
	s_cmp_eq_u32 s0, 15
	s_cbranch_scc0 .LBB9_1406
; %bb.1404:
	global_load_ushort v8, v[4:5], off
	s_mov_b32 s4, 0
	s_mov_b32 s6, -1
	s_waitcnt vmcnt(0)
	v_lshlrev_b32_e32 v8, 16, v8
	v_cvt_f64_f32_e32 v[8:9], v8
	s_branch .LBB9_1408
.LBB9_1405:
	s_mov_b32 s5, -1
	s_branch .LBB9_1407
.LBB9_1406:
	s_mov_b32 s4, -1
.LBB9_1407:
                                        ; implicit-def: $vgpr8_vgpr9
.LBB9_1408:
	s_and_b32 vcc_lo, exec_lo, s5
	s_mov_b32 s5, 0
	s_cbranch_vccz .LBB9_1410
; %bb.1409:
	s_cmp_lg_u32 s0, 11
	s_mov_b32 s5, -1
	s_cselect_b32 s4, -1, 0
.LBB9_1410:
	s_and_b32 vcc_lo, exec_lo, s4
	s_cbranch_vccnz .LBB9_1485
; %bb.1411:
	s_andn2_b32 vcc_lo, exec_lo, s5
	s_cbranch_vccnz .LBB9_1413
.LBB9_1412:
	global_load_ubyte v8, v[4:5], off
	s_mov_b32 s6, -1
	s_waitcnt vmcnt(0)
	v_cmp_ne_u16_e32 vcc_lo, 0, v8
	v_mov_b32_e32 v8, 0
	v_cndmask_b32_e64 v9, 0, 0x3ff00000, vcc_lo
.LBB9_1413:
	s_branch .LBB9_1339
.LBB9_1414:
	s_and_b32 s0, 0xffff, s3
	s_cmp_lt_i32 s0, 5
	s_cbranch_scc1 .LBB9_1419
; %bb.1415:
	s_cmp_lt_i32 s0, 8
	s_cbranch_scc1 .LBB9_1420
; %bb.1416:
	;; [unrolled: 3-line block ×3, first 2 shown]
	s_cmp_gt_i32 s0, 9
	s_cbranch_scc0 .LBB9_1422
; %bb.1418:
	global_load_dwordx2 v[8:9], v[4:5], off
	s_mov_b32 s4, 0
	s_branch .LBB9_1423
.LBB9_1419:
                                        ; implicit-def: $vgpr8_vgpr9
	s_branch .LBB9_1441
.LBB9_1420:
	s_mov_b32 s4, -1
                                        ; implicit-def: $vgpr8_vgpr9
	s_branch .LBB9_1429
.LBB9_1421:
	s_mov_b32 s4, -1
                                        ; implicit-def: $vgpr8_vgpr9
	s_branch .LBB9_1426
.LBB9_1422:
	s_mov_b32 s4, -1
                                        ; implicit-def: $vgpr8_vgpr9
.LBB9_1423:
	s_andn2_b32 vcc_lo, exec_lo, s4
	s_cbranch_vccnz .LBB9_1425
; %bb.1424:
	global_load_dword v8, v[4:5], off
	s_waitcnt vmcnt(0)
	v_cvt_f64_f32_e32 v[8:9], v8
.LBB9_1425:
	s_mov_b32 s4, 0
.LBB9_1426:
	s_andn2_b32 vcc_lo, exec_lo, s4
	s_cbranch_vccnz .LBB9_1428
; %bb.1427:
	global_load_dword v8, v[4:5], off
	s_waitcnt vmcnt(0)
	v_cvt_f32_f16_e32 v8, v8
	v_cvt_f64_f32_e32 v[8:9], v8
.LBB9_1428:
	s_mov_b32 s4, 0
.LBB9_1429:
	s_andn2_b32 vcc_lo, exec_lo, s4
	s_cbranch_vccnz .LBB9_1440
; %bb.1430:
	s_cmp_lt_i32 s0, 6
	s_cbranch_scc1 .LBB9_1433
; %bb.1431:
	s_cmp_gt_i32 s0, 6
	s_cbranch_scc0 .LBB9_1434
; %bb.1432:
	global_load_dwordx2 v[8:9], v[4:5], off
	s_mov_b32 s4, 0
	s_branch .LBB9_1435
.LBB9_1433:
	s_mov_b32 s4, -1
                                        ; implicit-def: $vgpr8_vgpr9
	s_branch .LBB9_1438
.LBB9_1434:
	s_mov_b32 s4, -1
                                        ; implicit-def: $vgpr8_vgpr9
.LBB9_1435:
	s_andn2_b32 vcc_lo, exec_lo, s4
	s_cbranch_vccnz .LBB9_1437
; %bb.1436:
	global_load_dword v8, v[4:5], off
	s_waitcnt vmcnt(0)
	v_cvt_f64_f32_e32 v[8:9], v8
.LBB9_1437:
	s_mov_b32 s4, 0
.LBB9_1438:
	s_andn2_b32 vcc_lo, exec_lo, s4
	s_cbranch_vccnz .LBB9_1440
; %bb.1439:
	global_load_ushort v8, v[4:5], off
	s_waitcnt vmcnt(0)
	v_cvt_f32_f16_e32 v8, v8
	v_cvt_f64_f32_e32 v[8:9], v8
.LBB9_1440:
	s_cbranch_execnz .LBB9_1460
.LBB9_1441:
	s_cmp_lt_i32 s0, 2
	s_cbranch_scc1 .LBB9_1445
; %bb.1442:
	s_cmp_lt_i32 s0, 3
	s_cbranch_scc1 .LBB9_1446
; %bb.1443:
	s_cmp_gt_i32 s0, 3
	s_cbranch_scc0 .LBB9_1447
; %bb.1444:
	global_load_dwordx2 v[8:9], v[4:5], off
	s_mov_b32 s4, 0
	s_waitcnt vmcnt(0)
	v_cvt_f64_i32_e32 v[11:12], v9
	v_cvt_f64_u32_e32 v[8:9], v8
	v_ldexp_f64 v[11:12], v[11:12], 32
	v_add_f64 v[8:9], v[11:12], v[8:9]
	s_branch .LBB9_1448
.LBB9_1445:
	s_mov_b32 s4, -1
                                        ; implicit-def: $vgpr8_vgpr9
	s_branch .LBB9_1454
.LBB9_1446:
	s_mov_b32 s4, -1
                                        ; implicit-def: $vgpr8_vgpr9
	s_branch .LBB9_1451
.LBB9_1447:
	s_mov_b32 s4, -1
                                        ; implicit-def: $vgpr8_vgpr9
.LBB9_1448:
	s_andn2_b32 vcc_lo, exec_lo, s4
	s_cbranch_vccnz .LBB9_1450
; %bb.1449:
	global_load_dword v8, v[4:5], off
	s_waitcnt vmcnt(0)
	v_cvt_f64_i32_e32 v[8:9], v8
.LBB9_1450:
	s_mov_b32 s4, 0
.LBB9_1451:
	s_andn2_b32 vcc_lo, exec_lo, s4
	s_cbranch_vccnz .LBB9_1453
; %bb.1452:
	global_load_sshort v8, v[4:5], off
	s_waitcnt vmcnt(0)
	v_cvt_f64_i32_e32 v[8:9], v8
.LBB9_1453:
	s_mov_b32 s4, 0
.LBB9_1454:
	s_andn2_b32 vcc_lo, exec_lo, s4
	s_cbranch_vccnz .LBB9_1460
; %bb.1455:
	s_cmp_gt_i32 s0, 0
	s_mov_b32 s0, 0
	s_cbranch_scc0 .LBB9_1457
; %bb.1456:
	global_load_sbyte v8, v[4:5], off
	s_waitcnt vmcnt(0)
	v_cvt_f64_i32_e32 v[8:9], v8
	s_branch .LBB9_1458
.LBB9_1457:
	s_mov_b32 s0, -1
                                        ; implicit-def: $vgpr8_vgpr9
.LBB9_1458:
	s_andn2_b32 vcc_lo, exec_lo, s0
	s_cbranch_vccnz .LBB9_1460
; %bb.1459:
	global_load_ubyte v4, v[4:5], off
	s_waitcnt vmcnt(0)
	v_cvt_f64_u32_e32 v[8:9], v4
.LBB9_1460:
.LBB9_1461:
	s_waitcnt vmcnt(0)
	v_cmp_ge_f64_e64 s0, 0x40200000, |v[8:9]|
                                        ; implicit-def: $vgpr4_vgpr5
	s_and_saveexec_b32 s4, s0
	s_xor_b32 s0, exec_lo, s4
	s_cbranch_execz .LBB9_1467
; %bb.1462:
	v_fma_f64 v[4:5], |v[8:9]|, 0.5, -2.0
	s_mov_b32 s4, 0xc38a0576
	s_mov_b32 s5, 0xbc7857d0
	;; [unrolled: 1-line block ×4, first 2 shown]
	v_fma_f64 v[11:12], v[4:5], s[6:7], s[4:5]
	s_mov_b32 s7, 0xbc499f2a
	s_mov_b32 s4, 0xe593bfac
	;; [unrolled: 1-line block ×3, first 2 shown]
	v_fma_f64 v[15:16], v[4:5], v[11:12], s[6:7]
	s_mov_b32 s6, 0x3b39803f
	s_mov_b32 s7, 0xbc7abc9e
	v_add_f64 v[15:16], v[15:16], s[4:5]
	s_mov_b32 s4, 0x7e0d1573
	s_mov_b32 s5, 0xbcd3eaaa
	v_fma_f64 v[11:12], v[4:5], v[15:16], -v[11:12]
	v_add_f64 v[11:12], v[11:12], s[4:5]
	s_mov_b32 s4, 0x615290c
	s_mov_b32 s5, 0x3d011d7f
	v_fma_f64 v[15:16], v[4:5], v[11:12], -v[15:16]
	;; [unrolled: 4-line block ×20, first 2 shown]
	v_add_f64 v[15:16], v[15:16], s[4:5]
	s_mov_b32 s4, 0x652b82fe
	s_mov_b32 s5, 0x3ff71547
	v_mul_f64 v[17:18], |v[8:9]|, s[4:5]
	s_mov_b32 s4, 0x7913a26a
	s_mov_b32 s5, 0xbf85a29f
	v_fma_f64 v[11:12], v[4:5], v[15:16], -v[11:12]
	v_rndne_f64_e32 v[17:18], v[17:18]
	v_add_f64 v[11:12], v[11:12], s[4:5]
	s_mov_b32 s4, 0xfefa39ef
	s_mov_b32 s5, 0xbfe62e42
	v_fma_f64 v[19:20], v[17:18], s[4:5], |v[8:9]|
	s_mov_b32 s4, 0xe7bb2349
	s_mov_b32 s5, 0x3f9951e3
	v_cvt_i32_f64_e32 v13, v[17:18]
	v_fma_f64 v[15:16], v[4:5], v[11:12], -v[15:16]
	v_fma_f64 v[19:20], v[17:18], s[6:7], v[19:20]
	s_mov_b32 s6, 0x6a5dcb37
	s_mov_b32 s7, 0x3e5ade15
	v_add_f64 v[15:16], v[15:16], s[4:5]
	s_mov_b32 s4, 0xfca7ab0c
	s_mov_b32 s5, 0x3e928af3
	v_fma_f64 v[21:22], v[19:20], s[6:7], s[4:5]
	s_mov_b32 s4, 0x537c9ebc
	s_mov_b32 s6, 0x623fde64
	;; [unrolled: 1-line block ×4, first 2 shown]
	v_fma_f64 v[11:12], v[4:5], v[15:16], -v[11:12]
	v_fma_f64 v[21:22], v[19:20], v[21:22], s[6:7]
	s_mov_b32 s6, 0x14761f6e
	s_mov_b32 s7, 0x3f2a01a0
	v_add_f64 v[11:12], v[11:12], s[4:5]
	s_mov_b32 s4, 0x7c89e6b0
	s_mov_b32 s5, 0x3efa0199
	v_fma_f64 v[21:22], v[19:20], v[21:22], s[4:5]
	s_mov_b32 s4, 0xd536f53c
	s_mov_b32 s5, 0x3fba46da
	v_fma_f64 v[15:16], v[4:5], v[11:12], -v[15:16]
	v_fma_f64 v[21:22], v[19:20], v[21:22], s[6:7]
	s_mov_b32 s6, 0x11122322
	s_mov_b32 s7, 0x3f811111
	v_add_f64 v[15:16], v[15:16], s[4:5]
	s_mov_b32 s4, 0x1852b7b0
	s_mov_b32 s5, 0x3f56c16c
	v_fma_f64 v[21:22], v[19:20], v[21:22], s[4:5]
	s_mov_b32 s4, 0x469192e
	s_mov_b32 s5, 0xbfc694d1
	;; [unrolled: 10-line block ×3, first 2 shown]
	v_fma_f64 v[4:5], v[4:5], v[11:12], -v[15:16]
	v_fma_f64 v[11:12], v[19:20], v[21:22], s[6:7]
	v_add_f64 v[4:5], v[4:5], s[4:5]
	s_mov_b32 s4, 11
	s_mov_b32 s5, 0x3fe00000
	v_fma_f64 v[11:12], v[19:20], v[11:12], s[4:5]
	s_mov_b32 s4, exec_lo
	v_add_f64 v[4:5], v[4:5], -v[15:16]
	v_fma_f64 v[11:12], v[19:20], v[11:12], 1.0
	v_mul_f64 v[4:5], v[4:5], 0.5
	v_fma_f64 v[15:16], v[19:20], v[11:12], 1.0
	v_mul_f64 v[11:12], |v[8:9]|, v[4:5]
                                        ; implicit-def: $vgpr4_vgpr5
	v_cmpx_ngt_f64_e32 0, v[8:9]
	s_xor_b32 s4, exec_lo, s4
	s_cbranch_execz .LBB9_1464
; %bb.1463:
	v_ldexp_f64 v[4:5], v[15:16], v13
	v_cmp_nlt_f64_e64 vcc_lo, 0x40900000, |v[8:9]|
                                        ; implicit-def: $vgpr15_vgpr16
                                        ; implicit-def: $vgpr13
                                        ; implicit-def: $vgpr8_vgpr9
	v_cndmask_b32_e32 v5, 0x7ff00000, v5, vcc_lo
	v_cndmask_b32_e32 v4, 0, v4, vcc_lo
	v_mul_f64 v[4:5], v[4:5], v[11:12]
                                        ; implicit-def: $vgpr11_vgpr12
.LBB9_1464:
	s_andn2_saveexec_b32 s4, s4
	s_cbranch_execz .LBB9_1466
; %bb.1465:
	v_ldexp_f64 v[4:5], -v[15:16], v13
	v_cmp_nlt_f64_e64 vcc_lo, 0x40900000, |v[8:9]|
	v_cndmask_b32_e32 v5, 0xfff00000, v5, vcc_lo
	v_cndmask_b32_e32 v4, 0, v4, vcc_lo
	v_mul_f64 v[4:5], v[4:5], v[11:12]
.LBB9_1466:
	s_or_b32 exec_lo, exec_lo, s4
                                        ; implicit-def: $vgpr8_vgpr9
.LBB9_1467:
	s_andn2_saveexec_b32 s4, s0
	s_cbranch_execz .LBB9_1473
; %bb.1468:
	v_and_b32_e32 v5, 0x7fffffff, v9
	v_mov_b32_e32 v4, v8
	s_mov_b32 s6, 0xea87b950
	s_mov_b32 s7, 0x3c545b8a
	;; [unrolled: 1-line block ×4, first 2 shown]
	v_div_scale_f64 v[11:12], null, v[4:5], v[4:5], 0x40400000
	v_div_scale_f64 v[4:5], vcc_lo, 0x40400000, v[4:5], 0x40400000
	v_cmp_ngt_f64_e64 s0, 0, v[8:9]
	v_rcp_f64_e32 v[15:16], v[11:12]
	v_fma_f64 v[17:18], -v[11:12], v[15:16], 1.0
	v_fma_f64 v[15:16], v[15:16], v[17:18], v[15:16]
	v_fma_f64 v[17:18], -v[11:12], v[15:16], 1.0
	v_fma_f64 v[15:16], v[15:16], v[17:18], v[15:16]
	v_mul_f64 v[17:18], v[4:5], v[15:16]
	v_fma_f64 v[4:5], -v[11:12], v[17:18], v[4:5]
	v_div_fmas_f64 v[4:5], v[4:5], v[15:16], v[17:18]
	v_cmp_nlt_f64_e64 vcc_lo, 0x40900000, |v[8:9]|
	v_div_fixup_f64 v[4:5], v[4:5], |v[8:9]|, 0x40400000
	v_add_f64 v[4:5], v[4:5], -2.0
	v_fma_f64 v[11:12], v[4:5], s[14:15], s[6:7]
	s_mov_b32 s15, 0xbc61556d
	s_mov_b32 s6, 0xb2532277
	s_mov_b32 s7, 0xbc8acea3
	v_fma_f64 v[15:16], v[4:5], v[11:12], s[14:15]
	s_mov_b32 s14, 0x6a5dcb37
	s_mov_b32 s15, 0x3e5ade15
	v_add_f64 v[15:16], v[15:16], s[6:7]
	s_mov_b32 s6, 0x9c773320
	s_mov_b32 s7, 0xbc82806c
	v_fma_f64 v[11:12], v[4:5], v[15:16], -v[11:12]
	v_add_f64 v[11:12], v[11:12], s[6:7]
	s_mov_b32 s6, 0xfceb588a
	s_mov_b32 s7, 0x3cb55915
	v_fma_f64 v[15:16], v[4:5], v[11:12], -v[15:16]
	v_add_f64 v[15:16], v[15:16], s[6:7]
	s_mov_b32 s6, 0x5f04a2d1
	s_mov_b32 s7, 0x3cb7d68e
	v_fma_f64 v[11:12], v[4:5], v[15:16], -v[11:12]
	v_add_f64 v[11:12], v[11:12], s[6:7]
	s_mov_b32 s6, 0x8bc4d22a
	s_mov_b32 s7, 0xbce0efcd
	v_fma_f64 v[15:16], v[4:5], v[11:12], -v[15:16]
	v_add_f64 v[15:16], v[15:16], s[6:7]
	s_mov_b32 s6, 0x138afbc7
	s_mov_b32 s7, 0xbcf12db5
	v_fma_f64 v[11:12], v[4:5], v[15:16], -v[11:12]
	v_add_f64 v[11:12], v[11:12], s[6:7]
	s_mov_b32 s6, 0x762d31e8
	s_mov_b32 s7, 0x3d0776e1
	v_fma_f64 v[15:16], v[4:5], v[11:12], -v[15:16]
	v_add_f64 v[15:16], v[15:16], s[6:7]
	s_mov_b32 s6, 0x26b3281e
	s_mov_b32 s7, 0x3d280d3c
	v_fma_f64 v[11:12], v[4:5], v[15:16], -v[11:12]
	v_add_f64 v[11:12], v[11:12], s[6:7]
	s_mov_b32 s6, 0x2e6d22a0
	s_mov_b32 s7, 0xbd17a948
	v_fma_f64 v[15:16], v[4:5], v[11:12], -v[15:16]
	v_add_f64 v[15:16], v[15:16], s[6:7]
	s_mov_b32 s6, 0x8e73e255
	s_mov_b32 s7, 0xbd5cbc45
	v_fma_f64 v[11:12], v[4:5], v[15:16], -v[11:12]
	v_add_f64 v[11:12], v[11:12], s[6:7]
	s_mov_b32 s6, 0x76ab493
	s_mov_b32 s7, 0xbd6953e1
	v_fma_f64 v[15:16], v[4:5], v[11:12], -v[15:16]
	v_add_f64 v[15:16], v[15:16], s[6:7]
	s_mov_b32 s6, 0xf6439fa3
	s_mov_b32 s7, 0x3d81e7d3
	v_fma_f64 v[11:12], v[4:5], v[15:16], -v[11:12]
	v_add_f64 v[11:12], v[11:12], s[6:7]
	s_mov_b32 s6, 0x653c457b
	s_mov_b32 s7, 0x3daf101f
	v_fma_f64 v[15:16], v[4:5], v[11:12], -v[15:16]
	v_add_f64 v[15:16], v[15:16], s[6:7]
	s_mov_b32 s6, 0xf1587865
	s_mov_b32 s7, 0x3dc1e1a1
	v_fma_f64 v[11:12], v[4:5], v[15:16], -v[11:12]
	v_add_f64 v[11:12], v[11:12], s[6:7]
	s_mov_b32 s6, 0xd4504c0c
	s_mov_b32 s7, 0xbdb4dcf9
	v_fma_f64 v[15:16], v[4:5], v[11:12], -v[15:16]
	v_add_f64 v[15:16], v[15:16], s[6:7]
	s_mov_b32 s6, 0x652b82fe
	s_mov_b32 s7, 0x3ff71547
	v_mul_f64 v[17:18], |v[8:9]|, s[6:7]
	s_mov_b32 s6, 0x5423dd80
	s_mov_b32 s7, 0xbe0334ca
	v_fma_f64 v[11:12], v[4:5], v[15:16], -v[11:12]
	v_rndne_f64_e32 v[17:18], v[17:18]
	v_add_f64 v[11:12], v[11:12], s[6:7]
	s_mov_b32 s6, 0xfefa39ef
	s_mov_b32 s7, 0xbfe62e42
	v_fma_f64 v[19:20], v[17:18], s[6:7], |v[8:9]|
	s_mov_b32 s6, 0x9ad53528
	s_mov_b32 s7, 0xbe30790b
	v_cvt_i32_f64_e32 v13, v[17:18]
	v_fma_f64 v[15:16], v[4:5], v[11:12], -v[15:16]
	v_add_f64 v[15:16], v[15:16], s[6:7]
	s_mov_b32 s6, 0x3b39803f
	s_mov_b32 s7, 0xbc7abc9e
	v_fma_f64 v[19:20], v[17:18], s[6:7], v[19:20]
	s_mov_b32 s6, 0xfca7ab0c
	s_mov_b32 s7, 0x3e928af3
	v_fma_f64 v[11:12], v[4:5], v[15:16], -v[11:12]
	v_fma_f64 v[21:22], v[19:20], s[14:15], s[6:7]
	s_mov_b32 s6, 0x94bb46c1
	s_mov_b32 s7, 0xbe5c4153
	v_add_f64 v[11:12], v[11:12], s[6:7]
	s_mov_b32 s6, 0x623fde64
	s_mov_b32 s7, 0x3ec71dee
	v_fma_f64 v[21:22], v[19:20], v[21:22], s[6:7]
	s_mov_b32 s6, 0x7c89e6b0
	s_mov_b32 s7, 0x3efa0199
	v_fma_f64 v[15:16], v[4:5], v[11:12], -v[15:16]
	v_fma_f64 v[21:22], v[19:20], v[21:22], s[6:7]
	s_mov_b32 s6, 0x2e9e5443
	s_mov_b32 s7, 0xbe90dbfd
	;; [unrolled: 10-line block ×5, first 2 shown]
	v_add_f64 v[11:12], v[11:12], s[6:7]
	s_mov_b32 s6, 0xb55b1514
	s_mov_b32 s7, 0x3fe8ea18
	v_fma_f64 v[21:22], v[19:20], v[21:22], 1.0
	v_fma_f64 v[4:5], v[4:5], v[11:12], -v[15:16]
	v_fma_f64 v[11:12], v[19:20], v[21:22], 1.0
	v_add_f64 v[4:5], v[4:5], s[6:7]
	v_ldexp_f64 v[11:12], v[11:12], v13
	v_add_f64 v[15:16], v[4:5], -v[15:16]
                                        ; implicit-def: $vgpr4_vgpr5
	v_cndmask_b32_e32 v12, 0x7ff00000, v12, vcc_lo
	v_cndmask_b32_e32 v11, 0, v11, vcc_lo
	s_and_saveexec_b32 s5, s0
	s_xor_b32 s0, exec_lo, s5
	s_cbranch_execz .LBB9_1470
; %bb.1469:
	v_cmp_gt_f64_e64 s5, 0x10000000, |v[8:9]|
	v_mul_f64 v[15:16], v[15:16], 0.5
	v_cndmask_b32_e64 v4, 0, 0x100, s5
	v_cndmask_b32_e64 v13, 0, 0xffffff80, s5
	v_mul_f64 v[11:12], v[11:12], v[15:16]
	v_ldexp_f64 v[4:5], |v[8:9]|, v4
	v_rsq_f64_e32 v[8:9], v[4:5]
	v_cmp_class_f64_e64 vcc_lo, v[4:5], 0x260
	v_mul_f64 v[17:18], v[4:5], v[8:9]
	v_mul_f64 v[8:9], v[8:9], 0.5
	v_fma_f64 v[19:20], -v[8:9], v[17:18], 0.5
	v_fma_f64 v[17:18], v[17:18], v[19:20], v[17:18]
	v_fma_f64 v[8:9], v[8:9], v[19:20], v[8:9]
	v_fma_f64 v[19:20], -v[17:18], v[17:18], v[4:5]
	v_fma_f64 v[17:18], v[19:20], v[8:9], v[17:18]
	v_fma_f64 v[19:20], -v[17:18], v[17:18], v[4:5]
	v_fma_f64 v[8:9], v[19:20], v[8:9], v[17:18]
	v_ldexp_f64 v[8:9], v[8:9], v13
	v_cndmask_b32_e32 v5, v9, v5, vcc_lo
	v_cndmask_b32_e32 v4, v8, v4, vcc_lo
	v_div_scale_f64 v[8:9], null, v[4:5], v[4:5], v[11:12]
	v_rcp_f64_e32 v[15:16], v[8:9]
	v_fma_f64 v[17:18], -v[8:9], v[15:16], 1.0
	v_fma_f64 v[15:16], v[15:16], v[17:18], v[15:16]
	v_fma_f64 v[17:18], -v[8:9], v[15:16], 1.0
	v_fma_f64 v[15:16], v[15:16], v[17:18], v[15:16]
	v_div_scale_f64 v[17:18], vcc_lo, v[11:12], v[4:5], v[11:12]
	v_mul_f64 v[19:20], v[17:18], v[15:16]
	v_fma_f64 v[8:9], -v[8:9], v[19:20], v[17:18]
	v_div_fmas_f64 v[8:9], v[8:9], v[15:16], v[19:20]
                                        ; implicit-def: $vgpr15_vgpr16
	v_div_fixup_f64 v[4:5], v[8:9], v[4:5], v[11:12]
                                        ; implicit-def: $vgpr8_vgpr9
                                        ; implicit-def: $vgpr11_vgpr12
.LBB9_1470:
	s_andn2_saveexec_b32 s0, s0
	s_cbranch_execz .LBB9_1472
; %bb.1471:
	v_cmp_gt_f64_e64 s5, 0x10000000, |v[8:9]|
	v_mul_f64 v[15:16], v[15:16], -0.5
	v_cndmask_b32_e64 v4, 0, 0x100, s5
	v_cndmask_b32_e64 v13, 0, 0xffffff80, s5
	v_mul_f64 v[11:12], v[11:12], v[15:16]
	v_ldexp_f64 v[4:5], |v[8:9]|, v4
	v_rsq_f64_e32 v[8:9], v[4:5]
	v_cmp_class_f64_e64 vcc_lo, v[4:5], 0x260
	v_mul_f64 v[17:18], v[4:5], v[8:9]
	v_mul_f64 v[8:9], v[8:9], 0.5
	v_fma_f64 v[19:20], -v[8:9], v[17:18], 0.5
	v_fma_f64 v[17:18], v[17:18], v[19:20], v[17:18]
	v_fma_f64 v[8:9], v[8:9], v[19:20], v[8:9]
	v_fma_f64 v[19:20], -v[17:18], v[17:18], v[4:5]
	v_fma_f64 v[17:18], v[19:20], v[8:9], v[17:18]
	v_fma_f64 v[19:20], -v[17:18], v[17:18], v[4:5]
	v_fma_f64 v[8:9], v[19:20], v[8:9], v[17:18]
	v_ldexp_f64 v[8:9], v[8:9], v13
	v_cndmask_b32_e32 v5, v9, v5, vcc_lo
	v_cndmask_b32_e32 v4, v8, v4, vcc_lo
	v_div_scale_f64 v[8:9], null, v[4:5], v[4:5], v[11:12]
	v_rcp_f64_e32 v[15:16], v[8:9]
	v_fma_f64 v[17:18], -v[8:9], v[15:16], 1.0
	v_fma_f64 v[15:16], v[15:16], v[17:18], v[15:16]
	v_fma_f64 v[17:18], -v[8:9], v[15:16], 1.0
	v_fma_f64 v[15:16], v[15:16], v[17:18], v[15:16]
	v_div_scale_f64 v[17:18], vcc_lo, v[11:12], v[4:5], v[11:12]
	v_mul_f64 v[19:20], v[17:18], v[15:16]
	v_fma_f64 v[8:9], -v[8:9], v[19:20], v[17:18]
	v_div_fmas_f64 v[8:9], v[8:9], v[15:16], v[19:20]
	v_div_fixup_f64 v[4:5], v[8:9], v[4:5], v[11:12]
.LBB9_1472:
	s_or_b32 exec_lo, exec_lo, s0
.LBB9_1473:
	s_or_b32 exec_lo, exec_lo, s4
	v_add_co_u32 v7, s0, s10, v7
	v_add_co_ci_u32_e64 v8, null, s11, 0, s0
	s_cmp_lt_i32 s3, 11
	s_cbranch_scc1 .LBB9_1480
; %bb.1474:
	s_and_b32 s0, 0xffff, s3
	s_mov_b32 s5, 0
	s_cmp_gt_i32 s0, 25
	s_cbranch_scc0 .LBB9_1482
; %bb.1475:
	s_cmp_gt_i32 s0, 28
	s_cbranch_scc0 .LBB9_1483
; %bb.1476:
	;; [unrolled: 3-line block ×4, first 2 shown]
	s_cmp_eq_u32 s0, 46
	s_mov_b32 s7, 0
	s_cbranch_scc0 .LBB9_1487
; %bb.1479:
	global_load_dword v9, v[7:8], off
	s_mov_b32 s4, 0
	s_mov_b32 s6, -1
	s_waitcnt vmcnt(0)
	v_lshlrev_b32_e32 v9, 16, v9
	v_cvt_f64_f32_e32 v[11:12], v9
	s_branch .LBB9_1489
.LBB9_1480:
	s_mov_b32 s6, 0
                                        ; implicit-def: $vgpr11_vgpr12
	s_cbranch_execnz .LBB9_1555
.LBB9_1481:
	s_andn2_b32 vcc_lo, exec_lo, s6
	s_cbranch_vccnz .LBB9_1836
	s_branch .LBB9_1603
.LBB9_1482:
	s_mov_b32 s7, -1
	s_mov_b32 s6, 0
	s_mov_b32 s4, 0
                                        ; implicit-def: $vgpr11_vgpr12
	s_branch .LBB9_1520
.LBB9_1483:
	s_mov_b32 s7, -1
	s_mov_b32 s6, 0
	s_mov_b32 s4, 0
                                        ; implicit-def: $vgpr11_vgpr12
	s_branch .LBB9_1499
.LBB9_1484:
	s_mov_b32 s7, -1
	s_mov_b32 s6, 0
	s_mov_b32 s4, 0
                                        ; implicit-def: $vgpr11_vgpr12
	s_branch .LBB9_1494
.LBB9_1485:
	s_or_b32 s1, s1, exec_lo
	s_trap 2
	s_cbranch_execz .LBB9_1412
	s_branch .LBB9_1413
.LBB9_1486:
	s_mov_b32 s7, -1
	s_mov_b32 s6, 0
	s_mov_b32 s4, 0
	s_branch .LBB9_1488
.LBB9_1487:
	s_mov_b32 s4, -1
	s_mov_b32 s6, 0
.LBB9_1488:
                                        ; implicit-def: $vgpr11_vgpr12
.LBB9_1489:
	s_and_b32 vcc_lo, exec_lo, s7
	s_cbranch_vccz .LBB9_1493
; %bb.1490:
	s_cmp_eq_u32 s0, 44
	s_cbranch_scc0 .LBB9_1492
; %bb.1491:
	global_load_ubyte v9, v[7:8], off
	s_mov_b32 s4, 0
	s_mov_b32 s6, -1
	s_waitcnt vmcnt(0)
	v_lshlrev_b32_e32 v11, 23, v9
	v_cmp_ne_u32_e32 vcc_lo, 0xff, v9
	v_cvt_f64_f32_e32 v[11:12], v11
	v_cndmask_b32_e32 v11, 0x20000000, v11, vcc_lo
	v_cndmask_b32_e32 v12, 0x7ff80000, v12, vcc_lo
	v_cmp_ne_u32_e32 vcc_lo, 0, v9
	v_cndmask_b32_e32 v12, 0x38000000, v12, vcc_lo
	v_cndmask_b32_e32 v11, 0, v11, vcc_lo
	s_branch .LBB9_1493
.LBB9_1492:
	s_mov_b32 s4, -1
                                        ; implicit-def: $vgpr11_vgpr12
.LBB9_1493:
	s_mov_b32 s7, 0
.LBB9_1494:
	s_and_b32 vcc_lo, exec_lo, s7
	s_cbranch_vccz .LBB9_1498
; %bb.1495:
	s_cmp_eq_u32 s0, 29
	s_cbranch_scc0 .LBB9_1497
; %bb.1496:
	global_load_dwordx2 v[11:12], v[7:8], off
	s_mov_b32 s4, 0
	s_mov_b32 s6, -1
	s_mov_b32 s7, 0
	s_waitcnt vmcnt(0)
	v_cvt_f64_u32_e32 v[12:13], v12
	v_cvt_f64_u32_e32 v[15:16], v11
	v_ldexp_f64 v[12:13], v[12:13], 32
	v_add_f64 v[11:12], v[12:13], v[15:16]
	s_branch .LBB9_1499
.LBB9_1497:
	s_mov_b32 s4, -1
                                        ; implicit-def: $vgpr11_vgpr12
.LBB9_1498:
	s_mov_b32 s7, 0
.LBB9_1499:
	s_and_b32 vcc_lo, exec_lo, s7
	s_cbranch_vccz .LBB9_1519
; %bb.1500:
	s_cmp_lt_i32 s0, 27
	s_cbranch_scc1 .LBB9_1503
; %bb.1501:
	s_cmp_gt_i32 s0, 27
	s_cbranch_scc0 .LBB9_1504
; %bb.1502:
	global_load_dword v9, v[7:8], off
	s_mov_b32 s6, 0
	s_waitcnt vmcnt(0)
	v_cvt_f64_u32_e32 v[11:12], v9
	s_branch .LBB9_1505
.LBB9_1503:
	s_mov_b32 s6, -1
                                        ; implicit-def: $vgpr11_vgpr12
	s_branch .LBB9_1508
.LBB9_1504:
	s_mov_b32 s6, -1
                                        ; implicit-def: $vgpr11_vgpr12
.LBB9_1505:
	s_andn2_b32 vcc_lo, exec_lo, s6
	s_cbranch_vccnz .LBB9_1507
; %bb.1506:
	global_load_ushort v9, v[7:8], off
	s_waitcnt vmcnt(0)
	v_cvt_f64_u32_e32 v[11:12], v9
.LBB9_1507:
	s_mov_b32 s6, 0
.LBB9_1508:
	s_andn2_b32 vcc_lo, exec_lo, s6
	s_cbranch_vccnz .LBB9_1518
; %bb.1509:
	global_load_ubyte v9, v[7:8], off
	s_mov_b32 s6, 0
	s_mov_b32 s7, exec_lo
	s_waitcnt vmcnt(0)
	v_cmpx_lt_i16_e32 0x7f, v9
	s_xor_b32 s7, exec_lo, s7
	s_cbranch_execz .LBB9_1513
; %bb.1510:
	s_mov_b32 s6, -1
	s_mov_b32 s14, exec_lo
	v_cmpx_eq_u16_e32 0x80, v9
; %bb.1511:
	s_xor_b32 s6, exec_lo, -1
; %bb.1512:
	s_or_b32 exec_lo, exec_lo, s14
	s_and_b32 s6, s6, exec_lo
.LBB9_1513:
	s_or_saveexec_b32 s7, s7
	v_bfrev_b32_e32 v11, 4
	v_mov_b32_e32 v12, 0x7ff80000
	s_xor_b32 exec_lo, exec_lo, s7
; %bb.1514:
	v_cmp_ne_u16_e32 vcc_lo, 0, v9
	v_mov_b32_e32 v11, 0
	v_mov_b32_e32 v12, 0
	s_andn2_b32 s6, s6, exec_lo
	s_and_b32 s14, vcc_lo, exec_lo
	s_or_b32 s6, s6, s14
; %bb.1515:
	s_or_b32 exec_lo, exec_lo, s7
	s_and_saveexec_b32 s7, s6
	s_cbranch_execz .LBB9_1517
; %bb.1516:
	v_and_b32_e32 v11, 0xffff, v9
	v_lshlrev_b32_e32 v9, 24, v9
	v_and_b32_e32 v12, 7, v11
	v_bfe_u32 v16, v11, 3, 4
	v_and_b32_e32 v9, 0x80000000, v9
	v_ffbh_u32_e32 v13, v12
	v_cmp_eq_u32_e32 vcc_lo, 0, v16
	v_min_u32_e32 v13, 32, v13
	v_subrev_nc_u32_e32 v15, 28, v13
	v_sub_nc_u32_e32 v13, 29, v13
	v_lshlrev_b32_e32 v11, v15, v11
	v_cndmask_b32_e32 v13, v16, v13, vcc_lo
	v_and_b32_e32 v11, 7, v11
	v_cndmask_b32_e32 v11, v12, v11, vcc_lo
	v_lshl_add_u32 v12, v13, 23, 0x3b800000
	v_lshlrev_b32_e32 v11, 20, v11
	v_or3_b32 v9, v9, v12, v11
	v_cvt_f64_f32_e32 v[11:12], v9
.LBB9_1517:
	s_or_b32 exec_lo, exec_lo, s7
.LBB9_1518:
	s_mov_b32 s6, -1
.LBB9_1519:
	s_mov_b32 s7, 0
.LBB9_1520:
	s_and_b32 vcc_lo, exec_lo, s7
	s_cbranch_vccz .LBB9_1551
; %bb.1521:
	s_cmp_gt_i32 s0, 22
	s_cbranch_scc0 .LBB9_1533
; %bb.1522:
	s_cmp_lt_i32 s0, 24
	s_cbranch_scc1 .LBB9_1534
; %bb.1523:
	s_cmp_gt_i32 s0, 24
	s_cbranch_scc0 .LBB9_1535
; %bb.1524:
	global_load_ubyte v9, v[7:8], off
	s_mov_b32 s6, exec_lo
	s_waitcnt vmcnt(0)
	v_cmpx_lt_i16_e32 0x7f, v9
	s_xor_b32 s6, exec_lo, s6
	s_cbranch_execz .LBB9_1528
; %bb.1525:
	s_mov_b32 s5, -1
	s_mov_b32 s7, exec_lo
	v_cmpx_eq_u16_e32 0x80, v9
; %bb.1526:
	s_xor_b32 s5, exec_lo, -1
; %bb.1527:
	s_or_b32 exec_lo, exec_lo, s7
	s_and_b32 s5, s5, exec_lo
.LBB9_1528:
	s_or_saveexec_b32 s6, s6
	v_bfrev_b32_e32 v11, 4
	v_mov_b32_e32 v12, 0x7ff80000
	s_xor_b32 exec_lo, exec_lo, s6
; %bb.1529:
	v_cmp_ne_u16_e32 vcc_lo, 0, v9
	v_mov_b32_e32 v11, 0
	v_mov_b32_e32 v12, 0
	s_andn2_b32 s5, s5, exec_lo
	s_and_b32 s7, vcc_lo, exec_lo
	s_or_b32 s5, s5, s7
; %bb.1530:
	s_or_b32 exec_lo, exec_lo, s6
	s_and_saveexec_b32 s6, s5
	s_cbranch_execz .LBB9_1532
; %bb.1531:
	v_and_b32_e32 v11, 0xffff, v9
	v_lshlrev_b32_e32 v9, 24, v9
	v_and_b32_e32 v12, 3, v11
	v_bfe_u32 v16, v11, 2, 5
	v_and_b32_e32 v9, 0x80000000, v9
	v_ffbh_u32_e32 v13, v12
	v_cmp_eq_u32_e32 vcc_lo, 0, v16
	v_min_u32_e32 v13, 32, v13
	v_subrev_nc_u32_e32 v15, 29, v13
	v_sub_nc_u32_e32 v13, 30, v13
	v_lshlrev_b32_e32 v11, v15, v11
	v_cndmask_b32_e32 v13, v16, v13, vcc_lo
	v_and_b32_e32 v11, 3, v11
	v_cndmask_b32_e32 v11, v12, v11, vcc_lo
	v_lshl_add_u32 v12, v13, 23, 0x37800000
	v_lshlrev_b32_e32 v11, 21, v11
	v_or3_b32 v9, v9, v12, v11
	v_cvt_f64_f32_e32 v[11:12], v9
.LBB9_1532:
	s_or_b32 exec_lo, exec_lo, s6
	s_mov_b32 s5, 0
	s_branch .LBB9_1536
.LBB9_1533:
	s_mov_b32 s5, -1
                                        ; implicit-def: $vgpr11_vgpr12
	s_branch .LBB9_1542
.LBB9_1534:
	s_mov_b32 s5, -1
                                        ; implicit-def: $vgpr11_vgpr12
	s_branch .LBB9_1539
.LBB9_1535:
	s_mov_b32 s5, -1
                                        ; implicit-def: $vgpr11_vgpr12
.LBB9_1536:
	s_and_b32 vcc_lo, exec_lo, s5
	s_cbranch_vccz .LBB9_1538
; %bb.1537:
	global_load_ubyte v9, v[7:8], off
	s_waitcnt vmcnt(0)
	v_lshlrev_b32_e32 v9, 24, v9
	v_and_b32_e32 v11, 0x7f000000, v9
	v_ffbh_u32_e32 v12, v11
	v_add_nc_u32_e32 v15, 0x1000000, v11
	v_cmp_ne_u32_e32 vcc_lo, 0, v11
	v_min_u32_e32 v12, 32, v12
	v_sub_nc_u32_e64 v12, v12, 4 clamp
	v_lshlrev_b32_e32 v13, v12, v11
	v_lshlrev_b32_e32 v12, 23, v12
	v_lshrrev_b32_e32 v13, 4, v13
	v_sub_nc_u32_e32 v12, v13, v12
	v_ashrrev_i32_e32 v13, 8, v15
	v_add_nc_u32_e32 v12, 0x3c000000, v12
	v_and_or_b32 v12, 0x7f800000, v13, v12
	v_cndmask_b32_e32 v11, 0, v12, vcc_lo
	v_and_or_b32 v9, 0x80000000, v9, v11
	v_cvt_f64_f32_e32 v[11:12], v9
.LBB9_1538:
	s_mov_b32 s5, 0
.LBB9_1539:
	s_andn2_b32 vcc_lo, exec_lo, s5
	s_cbranch_vccnz .LBB9_1541
; %bb.1540:
	global_load_ubyte v9, v[7:8], off
	s_waitcnt vmcnt(0)
	v_lshlrev_b32_e32 v11, 25, v9
	v_lshlrev_b16 v9, 8, v9
	v_lshrrev_b32_e32 v12, 4, v11
	v_and_or_b32 v13, 0x7f00, v9, 0.5
	v_cmp_gt_u32_e32 vcc_lo, 0x8000000, v11
	v_bfe_i32 v9, v9, 0, 16
	v_or_b32_e32 v12, 0x70000000, v12
	v_add_f32_e32 v13, -0.5, v13
	v_mul_f32_e32 v12, 0x7800000, v12
	v_cndmask_b32_e32 v11, v12, v13, vcc_lo
	v_and_or_b32 v9, 0x80000000, v9, v11
	v_cvt_f64_f32_e32 v[11:12], v9
.LBB9_1541:
	s_mov_b32 s5, 0
	s_mov_b32 s6, -1
.LBB9_1542:
	s_andn2_b32 vcc_lo, exec_lo, s5
	s_mov_b32 s5, 0
	s_cbranch_vccnz .LBB9_1551
; %bb.1543:
	s_cmp_gt_i32 s0, 14
	s_cbranch_scc0 .LBB9_1546
; %bb.1544:
	s_cmp_eq_u32 s0, 15
	s_cbranch_scc0 .LBB9_1547
; %bb.1545:
	global_load_ushort v9, v[7:8], off
	s_mov_b32 s4, 0
	s_mov_b32 s6, -1
	s_waitcnt vmcnt(0)
	v_lshlrev_b32_e32 v9, 16, v9
	v_cvt_f64_f32_e32 v[11:12], v9
	s_branch .LBB9_1549
.LBB9_1546:
	s_mov_b32 s5, -1
	s_branch .LBB9_1548
.LBB9_1547:
	s_mov_b32 s4, -1
.LBB9_1548:
                                        ; implicit-def: $vgpr11_vgpr12
.LBB9_1549:
	s_and_b32 vcc_lo, exec_lo, s5
	s_mov_b32 s5, 0
	s_cbranch_vccz .LBB9_1551
; %bb.1550:
	s_cmp_lg_u32 s0, 11
	s_mov_b32 s5, -1
	s_cselect_b32 s4, -1, 0
.LBB9_1551:
	s_and_b32 vcc_lo, exec_lo, s4
	s_cbranch_vccnz .LBB9_1626
; %bb.1552:
	s_andn2_b32 vcc_lo, exec_lo, s5
	s_cbranch_vccnz .LBB9_1554
.LBB9_1553:
	global_load_ubyte v9, v[7:8], off
	v_mov_b32_e32 v11, 0
	s_mov_b32 s6, -1
	s_waitcnt vmcnt(0)
	v_cmp_ne_u16_e32 vcc_lo, 0, v9
	v_cndmask_b32_e64 v12, 0, 0x3ff00000, vcc_lo
.LBB9_1554:
	s_branch .LBB9_1481
.LBB9_1555:
	s_and_b32 s0, 0xffff, s3
	s_cmp_lt_i32 s0, 5
	s_cbranch_scc1 .LBB9_1560
; %bb.1556:
	s_cmp_lt_i32 s0, 8
	s_cbranch_scc1 .LBB9_1561
; %bb.1557:
	;; [unrolled: 3-line block ×3, first 2 shown]
	s_cmp_gt_i32 s0, 9
	s_cbranch_scc0 .LBB9_1563
; %bb.1559:
	global_load_dwordx2 v[11:12], v[7:8], off
	s_mov_b32 s4, 0
	s_branch .LBB9_1564
.LBB9_1560:
	s_mov_b32 s4, -1
                                        ; implicit-def: $vgpr11_vgpr12
	s_branch .LBB9_1582
.LBB9_1561:
	s_mov_b32 s4, -1
                                        ; implicit-def: $vgpr11_vgpr12
	s_branch .LBB9_1570
.LBB9_1562:
	s_mov_b32 s4, -1
                                        ; implicit-def: $vgpr11_vgpr12
	s_branch .LBB9_1567
.LBB9_1563:
	s_mov_b32 s4, -1
                                        ; implicit-def: $vgpr11_vgpr12
.LBB9_1564:
	s_andn2_b32 vcc_lo, exec_lo, s4
	s_cbranch_vccnz .LBB9_1566
; %bb.1565:
	global_load_dword v9, v[7:8], off
	s_waitcnt vmcnt(0)
	v_cvt_f64_f32_e32 v[11:12], v9
.LBB9_1566:
	s_mov_b32 s4, 0
.LBB9_1567:
	s_andn2_b32 vcc_lo, exec_lo, s4
	s_cbranch_vccnz .LBB9_1569
; %bb.1568:
	global_load_dword v9, v[7:8], off
	s_waitcnt vmcnt(0)
	v_cvt_f32_f16_e32 v9, v9
	v_cvt_f64_f32_e32 v[11:12], v9
.LBB9_1569:
	s_mov_b32 s4, 0
.LBB9_1570:
	s_andn2_b32 vcc_lo, exec_lo, s4
	s_cbranch_vccnz .LBB9_1581
; %bb.1571:
	s_cmp_lt_i32 s0, 6
	s_cbranch_scc1 .LBB9_1574
; %bb.1572:
	s_cmp_gt_i32 s0, 6
	s_cbranch_scc0 .LBB9_1575
; %bb.1573:
	global_load_dwordx2 v[11:12], v[7:8], off
	s_mov_b32 s4, 0
	s_branch .LBB9_1576
.LBB9_1574:
	s_mov_b32 s4, -1
                                        ; implicit-def: $vgpr11_vgpr12
	s_branch .LBB9_1579
.LBB9_1575:
	s_mov_b32 s4, -1
                                        ; implicit-def: $vgpr11_vgpr12
.LBB9_1576:
	s_andn2_b32 vcc_lo, exec_lo, s4
	s_cbranch_vccnz .LBB9_1578
; %bb.1577:
	global_load_dword v9, v[7:8], off
	s_waitcnt vmcnt(0)
	v_cvt_f64_f32_e32 v[11:12], v9
.LBB9_1578:
	s_mov_b32 s4, 0
.LBB9_1579:
	s_andn2_b32 vcc_lo, exec_lo, s4
	s_cbranch_vccnz .LBB9_1581
; %bb.1580:
	global_load_ushort v9, v[7:8], off
	s_waitcnt vmcnt(0)
	v_cvt_f32_f16_e32 v9, v9
	v_cvt_f64_f32_e32 v[11:12], v9
.LBB9_1581:
	s_mov_b32 s4, 0
.LBB9_1582:
	s_andn2_b32 vcc_lo, exec_lo, s4
	s_cbranch_vccnz .LBB9_1602
; %bb.1583:
	s_cmp_lt_i32 s0, 2
	s_cbranch_scc1 .LBB9_1587
; %bb.1584:
	s_cmp_lt_i32 s0, 3
	s_cbranch_scc1 .LBB9_1588
; %bb.1585:
	s_cmp_gt_i32 s0, 3
	s_cbranch_scc0 .LBB9_1589
; %bb.1586:
	global_load_dwordx2 v[11:12], v[7:8], off
	s_mov_b32 s4, 0
	s_waitcnt vmcnt(0)
	v_cvt_f64_i32_e32 v[12:13], v12
	v_cvt_f64_u32_e32 v[15:16], v11
	v_ldexp_f64 v[12:13], v[12:13], 32
	v_add_f64 v[11:12], v[12:13], v[15:16]
	s_branch .LBB9_1590
.LBB9_1587:
	s_mov_b32 s4, -1
                                        ; implicit-def: $vgpr11_vgpr12
	s_branch .LBB9_1596
.LBB9_1588:
	s_mov_b32 s4, -1
                                        ; implicit-def: $vgpr11_vgpr12
	s_branch .LBB9_1593
.LBB9_1589:
	s_mov_b32 s4, -1
                                        ; implicit-def: $vgpr11_vgpr12
.LBB9_1590:
	s_andn2_b32 vcc_lo, exec_lo, s4
	s_cbranch_vccnz .LBB9_1592
; %bb.1591:
	global_load_dword v9, v[7:8], off
	s_waitcnt vmcnt(0)
	v_cvt_f64_i32_e32 v[11:12], v9
.LBB9_1592:
	s_mov_b32 s4, 0
.LBB9_1593:
	s_andn2_b32 vcc_lo, exec_lo, s4
	s_cbranch_vccnz .LBB9_1595
; %bb.1594:
	global_load_sshort v9, v[7:8], off
	s_waitcnt vmcnt(0)
	v_cvt_f64_i32_e32 v[11:12], v9
.LBB9_1595:
	s_mov_b32 s4, 0
.LBB9_1596:
	s_andn2_b32 vcc_lo, exec_lo, s4
	s_cbranch_vccnz .LBB9_1602
; %bb.1597:
	s_cmp_gt_i32 s0, 0
	s_mov_b32 s0, 0
	s_cbranch_scc0 .LBB9_1599
; %bb.1598:
	global_load_sbyte v9, v[7:8], off
	s_waitcnt vmcnt(0)
	v_cvt_f64_i32_e32 v[11:12], v9
	s_branch .LBB9_1600
.LBB9_1599:
	s_mov_b32 s0, -1
                                        ; implicit-def: $vgpr11_vgpr12
.LBB9_1600:
	s_andn2_b32 vcc_lo, exec_lo, s0
	s_cbranch_vccnz .LBB9_1602
; %bb.1601:
	global_load_ubyte v7, v[7:8], off
	s_waitcnt vmcnt(0)
	v_cvt_f64_u32_e32 v[11:12], v7
.LBB9_1602:
.LBB9_1603:
	s_waitcnt vmcnt(0)
	v_cmp_ge_f64_e64 s0, 0x40200000, |v[11:12]|
                                        ; implicit-def: $vgpr8_vgpr9
	s_and_saveexec_b32 s4, s0
	s_xor_b32 s0, exec_lo, s4
	s_cbranch_execz .LBB9_1609
; %bb.1604:
	v_fma_f64 v[7:8], |v[11:12]|, 0.5, -2.0
	s_mov_b32 s4, 0xc38a0576
	s_mov_b32 s5, 0xbc7857d0
	;; [unrolled: 1-line block ×4, first 2 shown]
	v_fma_f64 v[15:16], v[7:8], s[6:7], s[4:5]
	s_mov_b32 s7, 0xbc499f2a
	s_mov_b32 s4, 0xe593bfac
	;; [unrolled: 1-line block ×3, first 2 shown]
	v_fma_f64 v[17:18], v[7:8], v[15:16], s[6:7]
	s_mov_b32 s6, 0x3b39803f
	s_mov_b32 s7, 0xbc7abc9e
	v_add_f64 v[17:18], v[17:18], s[4:5]
	s_mov_b32 s4, 0x7e0d1573
	s_mov_b32 s5, 0xbcd3eaaa
	v_fma_f64 v[15:16], v[7:8], v[17:18], -v[15:16]
	v_add_f64 v[15:16], v[15:16], s[4:5]
	s_mov_b32 s4, 0x615290c
	s_mov_b32 s5, 0x3d011d7f
	v_fma_f64 v[17:18], v[7:8], v[15:16], -v[17:18]
	;; [unrolled: 4-line block ×20, first 2 shown]
	v_add_f64 v[17:18], v[17:18], s[4:5]
	s_mov_b32 s4, 0x652b82fe
	s_mov_b32 s5, 0x3ff71547
	v_mul_f64 v[19:20], |v[11:12]|, s[4:5]
	s_mov_b32 s4, 0x7913a26a
	s_mov_b32 s5, 0xbf85a29f
	v_fma_f64 v[15:16], v[7:8], v[17:18], -v[15:16]
	v_rndne_f64_e32 v[19:20], v[19:20]
	v_add_f64 v[15:16], v[15:16], s[4:5]
	s_mov_b32 s4, 0xfefa39ef
	s_mov_b32 s5, 0xbfe62e42
	v_fma_f64 v[21:22], v[19:20], s[4:5], |v[11:12]|
	s_mov_b32 s4, 0xe7bb2349
	s_mov_b32 s5, 0x3f9951e3
	v_fma_f64 v[17:18], v[7:8], v[15:16], -v[17:18]
	v_fma_f64 v[21:22], v[19:20], s[6:7], v[21:22]
	s_mov_b32 s6, 0x6a5dcb37
	s_mov_b32 s7, 0x3e5ade15
	v_add_f64 v[17:18], v[17:18], s[4:5]
	s_mov_b32 s4, 0xfca7ab0c
	s_mov_b32 s5, 0x3e928af3
	v_fma_f64 v[23:24], v[21:22], s[6:7], s[4:5]
	s_mov_b32 s4, 0x537c9ebc
	s_mov_b32 s6, 0x623fde64
	;; [unrolled: 1-line block ×4, first 2 shown]
	v_fma_f64 v[15:16], v[7:8], v[17:18], -v[15:16]
	v_fma_f64 v[23:24], v[21:22], v[23:24], s[6:7]
	s_mov_b32 s6, 0x14761f6e
	s_mov_b32 s7, 0x3f2a01a0
	v_add_f64 v[15:16], v[15:16], s[4:5]
	s_mov_b32 s4, 0x7c89e6b0
	s_mov_b32 s5, 0x3efa0199
	v_fma_f64 v[23:24], v[21:22], v[23:24], s[4:5]
	s_mov_b32 s4, 0xd536f53c
	s_mov_b32 s5, 0x3fba46da
	v_fma_f64 v[17:18], v[7:8], v[15:16], -v[17:18]
	v_fma_f64 v[23:24], v[21:22], v[23:24], s[6:7]
	s_mov_b32 s6, 0x11122322
	s_mov_b32 s7, 0x3f811111
	v_add_f64 v[17:18], v[17:18], s[4:5]
	s_mov_b32 s4, 0x1852b7b0
	s_mov_b32 s5, 0x3f56c16c
	v_fma_f64 v[23:24], v[21:22], v[23:24], s[4:5]
	s_mov_b32 s4, 0x469192e
	s_mov_b32 s5, 0xbfc694d1
	;; [unrolled: 10-line block ×3, first 2 shown]
	v_fma_f64 v[7:8], v[7:8], v[15:16], -v[17:18]
	v_fma_f64 v[15:16], v[21:22], v[23:24], s[6:7]
	v_add_f64 v[7:8], v[7:8], s[4:5]
	s_mov_b32 s4, 11
	s_mov_b32 s5, 0x3fe00000
	v_fma_f64 v[15:16], v[21:22], v[15:16], s[4:5]
	s_mov_b32 s4, exec_lo
	v_add_f64 v[7:8], v[7:8], -v[17:18]
	v_fma_f64 v[15:16], v[21:22], v[15:16], 1.0
	v_mul_f64 v[7:8], v[7:8], 0.5
	v_fma_f64 v[17:18], v[21:22], v[15:16], 1.0
	v_mul_f64 v[15:16], |v[11:12]|, v[7:8]
	v_cvt_i32_f64_e32 v7, v[19:20]
                                        ; implicit-def: $vgpr8_vgpr9
	v_cmpx_ngt_f64_e32 0, v[11:12]
	s_xor_b32 s4, exec_lo, s4
	s_cbranch_execz .LBB9_1606
; %bb.1605:
	v_ldexp_f64 v[7:8], v[17:18], v7
	v_cmp_nlt_f64_e64 vcc_lo, 0x40900000, |v[11:12]|
                                        ; implicit-def: $vgpr17_vgpr18
                                        ; implicit-def: $vgpr11_vgpr12
	v_cndmask_b32_e32 v8, 0x7ff00000, v8, vcc_lo
	v_cndmask_b32_e32 v7, 0, v7, vcc_lo
	v_mul_f64 v[8:9], v[7:8], v[15:16]
                                        ; implicit-def: $vgpr7
                                        ; implicit-def: $vgpr15_vgpr16
.LBB9_1606:
	s_andn2_saveexec_b32 s4, s4
	s_cbranch_execz .LBB9_1608
; %bb.1607:
	v_ldexp_f64 v[7:8], -v[17:18], v7
	v_cmp_nlt_f64_e64 vcc_lo, 0x40900000, |v[11:12]|
	v_cndmask_b32_e32 v8, 0xfff00000, v8, vcc_lo
	v_cndmask_b32_e32 v7, 0, v7, vcc_lo
	v_mul_f64 v[8:9], v[7:8], v[15:16]
.LBB9_1608:
	s_or_b32 exec_lo, exec_lo, s4
                                        ; implicit-def: $vgpr11_vgpr12
.LBB9_1609:
	s_andn2_saveexec_b32 s4, s0
	s_cbranch_execz .LBB9_1615
; %bb.1610:
	v_and_b32_e32 v8, 0x7fffffff, v12
	v_mov_b32_e32 v7, v11
	s_mov_b32 s6, 0xea87b950
	s_mov_b32 s7, 0x3c545b8a
	;; [unrolled: 1-line block ×4, first 2 shown]
	v_div_scale_f64 v[15:16], null, v[7:8], v[7:8], 0x40400000
	v_div_scale_f64 v[7:8], vcc_lo, 0x40400000, v[7:8], 0x40400000
	v_cmp_ngt_f64_e64 s0, 0, v[11:12]
	v_rcp_f64_e32 v[17:18], v[15:16]
	v_fma_f64 v[19:20], -v[15:16], v[17:18], 1.0
	v_fma_f64 v[17:18], v[17:18], v[19:20], v[17:18]
	v_fma_f64 v[19:20], -v[15:16], v[17:18], 1.0
	v_fma_f64 v[17:18], v[17:18], v[19:20], v[17:18]
	v_mul_f64 v[19:20], v[7:8], v[17:18]
	v_fma_f64 v[7:8], -v[15:16], v[19:20], v[7:8]
	v_div_fmas_f64 v[7:8], v[7:8], v[17:18], v[19:20]
	v_cmp_nlt_f64_e64 vcc_lo, 0x40900000, |v[11:12]|
	v_div_fixup_f64 v[7:8], v[7:8], |v[11:12]|, 0x40400000
	v_add_f64 v[7:8], v[7:8], -2.0
	v_fma_f64 v[15:16], v[7:8], s[14:15], s[6:7]
	s_mov_b32 s15, 0xbc61556d
	s_mov_b32 s6, 0xb2532277
	;; [unrolled: 1-line block ×3, first 2 shown]
	v_fma_f64 v[17:18], v[7:8], v[15:16], s[14:15]
	s_mov_b32 s14, 0x6a5dcb37
	s_mov_b32 s15, 0x3e5ade15
	v_add_f64 v[17:18], v[17:18], s[6:7]
	s_mov_b32 s6, 0x9c773320
	s_mov_b32 s7, 0xbc82806c
	v_fma_f64 v[15:16], v[7:8], v[17:18], -v[15:16]
	v_add_f64 v[15:16], v[15:16], s[6:7]
	s_mov_b32 s6, 0xfceb588a
	s_mov_b32 s7, 0x3cb55915
	v_fma_f64 v[17:18], v[7:8], v[15:16], -v[17:18]
	;; [unrolled: 4-line block ×14, first 2 shown]
	v_add_f64 v[17:18], v[17:18], s[6:7]
	s_mov_b32 s6, 0x652b82fe
	s_mov_b32 s7, 0x3ff71547
	v_mul_f64 v[19:20], |v[11:12]|, s[6:7]
	s_mov_b32 s6, 0x5423dd80
	s_mov_b32 s7, 0xbe0334ca
	v_fma_f64 v[15:16], v[7:8], v[17:18], -v[15:16]
	v_rndne_f64_e32 v[19:20], v[19:20]
	v_add_f64 v[15:16], v[15:16], s[6:7]
	s_mov_b32 s6, 0xfefa39ef
	s_mov_b32 s7, 0xbfe62e42
	v_fma_f64 v[21:22], v[19:20], s[6:7], |v[11:12]|
	s_mov_b32 s6, 0x9ad53528
	s_mov_b32 s7, 0xbe30790b
	v_cvt_i32_f64_e32 v9, v[19:20]
	v_fma_f64 v[17:18], v[7:8], v[15:16], -v[17:18]
	v_add_f64 v[17:18], v[17:18], s[6:7]
	s_mov_b32 s6, 0x3b39803f
	s_mov_b32 s7, 0xbc7abc9e
	v_fma_f64 v[21:22], v[19:20], s[6:7], v[21:22]
	s_mov_b32 s6, 0xfca7ab0c
	s_mov_b32 s7, 0x3e928af3
	v_fma_f64 v[15:16], v[7:8], v[17:18], -v[15:16]
	v_fma_f64 v[23:24], v[21:22], s[14:15], s[6:7]
	s_mov_b32 s6, 0x94bb46c1
	s_mov_b32 s7, 0xbe5c4153
	v_add_f64 v[15:16], v[15:16], s[6:7]
	s_mov_b32 s6, 0x623fde64
	s_mov_b32 s7, 0x3ec71dee
	v_fma_f64 v[23:24], v[21:22], v[23:24], s[6:7]
	s_mov_b32 s6, 0x7c89e6b0
	s_mov_b32 s7, 0x3efa0199
	v_fma_f64 v[17:18], v[7:8], v[15:16], -v[17:18]
	v_fma_f64 v[23:24], v[21:22], v[23:24], s[6:7]
	s_mov_b32 s6, 0x2e9e5443
	s_mov_b32 s7, 0xbe90dbfd
	;; [unrolled: 10-line block ×5, first 2 shown]
	v_add_f64 v[15:16], v[15:16], s[6:7]
	s_mov_b32 s6, 0xb55b1514
	s_mov_b32 s7, 0x3fe8ea18
	v_fma_f64 v[23:24], v[21:22], v[23:24], 1.0
	v_fma_f64 v[7:8], v[7:8], v[15:16], -v[17:18]
	v_fma_f64 v[15:16], v[21:22], v[23:24], 1.0
	v_add_f64 v[7:8], v[7:8], s[6:7]
	v_ldexp_f64 v[15:16], v[15:16], v9
	v_add_f64 v[17:18], v[7:8], -v[17:18]
                                        ; implicit-def: $vgpr8_vgpr9
	v_cndmask_b32_e32 v16, 0x7ff00000, v16, vcc_lo
	v_cndmask_b32_e32 v15, 0, v15, vcc_lo
	s_and_saveexec_b32 s5, s0
	s_xor_b32 s0, exec_lo, s5
	s_cbranch_execz .LBB9_1612
; %bb.1611:
	v_cmp_gt_f64_e64 s5, 0x10000000, |v[11:12]|
	v_mul_f64 v[17:18], v[17:18], 0.5
	v_cndmask_b32_e64 v7, 0, 0x100, s5
	v_cndmask_b32_e64 v9, 0, 0xffffff80, s5
	v_mul_f64 v[15:16], v[15:16], v[17:18]
	v_ldexp_f64 v[7:8], |v[11:12]|, v7
	v_rsq_f64_e32 v[11:12], v[7:8]
	v_cmp_class_f64_e64 vcc_lo, v[7:8], 0x260
	v_mul_f64 v[19:20], v[7:8], v[11:12]
	v_mul_f64 v[11:12], v[11:12], 0.5
	v_fma_f64 v[21:22], -v[11:12], v[19:20], 0.5
	v_fma_f64 v[19:20], v[19:20], v[21:22], v[19:20]
	v_fma_f64 v[11:12], v[11:12], v[21:22], v[11:12]
	v_fma_f64 v[21:22], -v[19:20], v[19:20], v[7:8]
	v_fma_f64 v[19:20], v[21:22], v[11:12], v[19:20]
	v_fma_f64 v[21:22], -v[19:20], v[19:20], v[7:8]
	v_fma_f64 v[11:12], v[21:22], v[11:12], v[19:20]
	v_ldexp_f64 v[11:12], v[11:12], v9
	v_cndmask_b32_e32 v8, v12, v8, vcc_lo
	v_cndmask_b32_e32 v7, v11, v7, vcc_lo
	v_div_scale_f64 v[11:12], null, v[7:8], v[7:8], v[15:16]
	v_rcp_f64_e32 v[17:18], v[11:12]
	v_fma_f64 v[19:20], -v[11:12], v[17:18], 1.0
	v_fma_f64 v[17:18], v[17:18], v[19:20], v[17:18]
	v_fma_f64 v[19:20], -v[11:12], v[17:18], 1.0
	v_fma_f64 v[17:18], v[17:18], v[19:20], v[17:18]
	v_div_scale_f64 v[19:20], vcc_lo, v[15:16], v[7:8], v[15:16]
	v_mul_f64 v[21:22], v[19:20], v[17:18]
	v_fma_f64 v[11:12], -v[11:12], v[21:22], v[19:20]
	v_div_fmas_f64 v[11:12], v[11:12], v[17:18], v[21:22]
                                        ; implicit-def: $vgpr17_vgpr18
	v_div_fixup_f64 v[8:9], v[11:12], v[7:8], v[15:16]
                                        ; implicit-def: $vgpr11_vgpr12
                                        ; implicit-def: $vgpr15_vgpr16
.LBB9_1612:
	s_andn2_saveexec_b32 s0, s0
	s_cbranch_execz .LBB9_1614
; %bb.1613:
	v_cmp_gt_f64_e64 s5, 0x10000000, |v[11:12]|
	v_mul_f64 v[17:18], v[17:18], -0.5
	v_cndmask_b32_e64 v7, 0, 0x100, s5
	v_cndmask_b32_e64 v9, 0, 0xffffff80, s5
	v_mul_f64 v[15:16], v[15:16], v[17:18]
	v_ldexp_f64 v[7:8], |v[11:12]|, v7
	v_rsq_f64_e32 v[11:12], v[7:8]
	v_cmp_class_f64_e64 vcc_lo, v[7:8], 0x260
	v_mul_f64 v[19:20], v[7:8], v[11:12]
	v_mul_f64 v[11:12], v[11:12], 0.5
	v_fma_f64 v[21:22], -v[11:12], v[19:20], 0.5
	v_fma_f64 v[19:20], v[19:20], v[21:22], v[19:20]
	v_fma_f64 v[11:12], v[11:12], v[21:22], v[11:12]
	v_fma_f64 v[21:22], -v[19:20], v[19:20], v[7:8]
	v_fma_f64 v[19:20], v[21:22], v[11:12], v[19:20]
	v_fma_f64 v[21:22], -v[19:20], v[19:20], v[7:8]
	v_fma_f64 v[11:12], v[21:22], v[11:12], v[19:20]
	v_ldexp_f64 v[11:12], v[11:12], v9
	v_cndmask_b32_e32 v8, v12, v8, vcc_lo
	v_cndmask_b32_e32 v7, v11, v7, vcc_lo
	v_div_scale_f64 v[11:12], null, v[7:8], v[7:8], v[15:16]
	v_rcp_f64_e32 v[17:18], v[11:12]
	v_fma_f64 v[19:20], -v[11:12], v[17:18], 1.0
	v_fma_f64 v[17:18], v[17:18], v[19:20], v[17:18]
	v_fma_f64 v[19:20], -v[11:12], v[17:18], 1.0
	v_fma_f64 v[17:18], v[17:18], v[19:20], v[17:18]
	v_div_scale_f64 v[19:20], vcc_lo, v[15:16], v[7:8], v[15:16]
	v_mul_f64 v[21:22], v[19:20], v[17:18]
	v_fma_f64 v[11:12], -v[11:12], v[21:22], v[19:20]
	v_div_fmas_f64 v[11:12], v[11:12], v[17:18], v[21:22]
	v_div_fixup_f64 v[8:9], v[11:12], v[7:8], v[15:16]
.LBB9_1614:
	s_or_b32 exec_lo, exec_lo, s0
.LBB9_1615:
	s_or_b32 exec_lo, exec_lo, s4
	v_add_co_u32 v11, s0, s10, v3
	v_add_co_ci_u32_e64 v12, null, s11, 0, s0
	s_cmp_lt_i32 s3, 11
	s_cbranch_scc1 .LBB9_1622
; %bb.1616:
	s_and_b32 s0, 0xffff, s3
	s_mov_b32 s5, 0
	s_cmp_gt_i32 s0, 25
	s_cbranch_scc0 .LBB9_1623
; %bb.1617:
	s_cmp_gt_i32 s0, 28
	s_cbranch_scc0 .LBB9_1624
; %bb.1618:
	;; [unrolled: 3-line block ×4, first 2 shown]
	s_cmp_eq_u32 s0, 46
	s_mov_b32 s7, 0
	s_cbranch_scc0 .LBB9_1628
; %bb.1621:
	global_load_dword v3, v[11:12], off
	s_mov_b32 s4, 0
	s_mov_b32 s6, -1
	s_waitcnt vmcnt(0)
	v_lshlrev_b32_e32 v3, 16, v3
	v_cvt_f64_f32_e32 v[15:16], v3
	s_branch .LBB9_1630
.LBB9_1622:
	s_mov_b32 s0, -1
	s_mov_b32 s6, 0
                                        ; implicit-def: $vgpr15_vgpr16
	s_branch .LBB9_1696
.LBB9_1623:
	s_mov_b32 s7, -1
	s_mov_b32 s6, 0
	s_mov_b32 s4, 0
                                        ; implicit-def: $vgpr15_vgpr16
	s_branch .LBB9_1661
.LBB9_1624:
	s_mov_b32 s7, -1
	s_mov_b32 s6, 0
	s_mov_b32 s4, 0
                                        ; implicit-def: $vgpr15_vgpr16
	s_branch .LBB9_1640
.LBB9_1625:
	s_mov_b32 s7, -1
	s_mov_b32 s6, 0
	s_mov_b32 s4, 0
                                        ; implicit-def: $vgpr15_vgpr16
	s_branch .LBB9_1635
.LBB9_1626:
	s_or_b32 s1, s1, exec_lo
	s_trap 2
	s_cbranch_execz .LBB9_1553
	s_branch .LBB9_1554
.LBB9_1627:
	s_mov_b32 s7, -1
	s_mov_b32 s6, 0
	s_mov_b32 s4, 0
	s_branch .LBB9_1629
.LBB9_1628:
	s_mov_b32 s4, -1
	s_mov_b32 s6, 0
.LBB9_1629:
                                        ; implicit-def: $vgpr15_vgpr16
.LBB9_1630:
	s_and_b32 vcc_lo, exec_lo, s7
	s_cbranch_vccz .LBB9_1634
; %bb.1631:
	s_cmp_eq_u32 s0, 44
	s_cbranch_scc0 .LBB9_1633
; %bb.1632:
	global_load_ubyte v3, v[11:12], off
	s_mov_b32 s4, 0
	s_mov_b32 s6, -1
	s_waitcnt vmcnt(0)
	v_lshlrev_b32_e32 v7, 23, v3
	v_cmp_ne_u32_e32 vcc_lo, 0xff, v3
	v_cvt_f64_f32_e32 v[15:16], v7
	v_cndmask_b32_e32 v7, 0x20000000, v15, vcc_lo
	v_cndmask_b32_e32 v13, 0x7ff80000, v16, vcc_lo
	v_cmp_ne_u32_e32 vcc_lo, 0, v3
	v_cndmask_b32_e32 v16, 0x38000000, v13, vcc_lo
	v_cndmask_b32_e32 v15, 0, v7, vcc_lo
	s_branch .LBB9_1634
.LBB9_1633:
	s_mov_b32 s4, -1
                                        ; implicit-def: $vgpr15_vgpr16
.LBB9_1634:
	s_mov_b32 s7, 0
.LBB9_1635:
	s_and_b32 vcc_lo, exec_lo, s7
	s_cbranch_vccz .LBB9_1639
; %bb.1636:
	s_cmp_eq_u32 s0, 29
	s_cbranch_scc0 .LBB9_1638
; %bb.1637:
	global_load_dwordx2 v[15:16], v[11:12], off
	s_mov_b32 s4, 0
	s_mov_b32 s6, -1
	s_mov_b32 s7, 0
	s_waitcnt vmcnt(0)
	v_cvt_f64_u32_e32 v[16:17], v16
	v_cvt_f64_u32_e32 v[18:19], v15
	v_ldexp_f64 v[16:17], v[16:17], 32
	v_add_f64 v[15:16], v[16:17], v[18:19]
	s_branch .LBB9_1640
.LBB9_1638:
	s_mov_b32 s4, -1
                                        ; implicit-def: $vgpr15_vgpr16
.LBB9_1639:
	s_mov_b32 s7, 0
.LBB9_1640:
	s_and_b32 vcc_lo, exec_lo, s7
	s_cbranch_vccz .LBB9_1660
; %bb.1641:
	s_cmp_lt_i32 s0, 27
	s_cbranch_scc1 .LBB9_1644
; %bb.1642:
	s_cmp_gt_i32 s0, 27
	s_cbranch_scc0 .LBB9_1645
; %bb.1643:
	global_load_dword v3, v[11:12], off
	s_mov_b32 s6, 0
	s_waitcnt vmcnt(0)
	v_cvt_f64_u32_e32 v[15:16], v3
	s_branch .LBB9_1646
.LBB9_1644:
	s_mov_b32 s6, -1
                                        ; implicit-def: $vgpr15_vgpr16
	s_branch .LBB9_1649
.LBB9_1645:
	s_mov_b32 s6, -1
                                        ; implicit-def: $vgpr15_vgpr16
.LBB9_1646:
	s_andn2_b32 vcc_lo, exec_lo, s6
	s_cbranch_vccnz .LBB9_1648
; %bb.1647:
	global_load_ushort v3, v[11:12], off
	s_waitcnt vmcnt(0)
	v_cvt_f64_u32_e32 v[15:16], v3
.LBB9_1648:
	s_mov_b32 s6, 0
.LBB9_1649:
	s_andn2_b32 vcc_lo, exec_lo, s6
	s_cbranch_vccnz .LBB9_1659
; %bb.1650:
	global_load_ubyte v3, v[11:12], off
	s_mov_b32 s6, 0
	s_mov_b32 s7, exec_lo
	s_waitcnt vmcnt(0)
	v_cmpx_lt_i16_e32 0x7f, v3
	s_xor_b32 s7, exec_lo, s7
	s_cbranch_execz .LBB9_1654
; %bb.1651:
	s_mov_b32 s6, -1
	s_mov_b32 s10, exec_lo
	v_cmpx_eq_u16_e32 0x80, v3
; %bb.1652:
	s_xor_b32 s6, exec_lo, -1
; %bb.1653:
	s_or_b32 exec_lo, exec_lo, s10
	s_and_b32 s6, s6, exec_lo
.LBB9_1654:
	s_or_saveexec_b32 s7, s7
	v_bfrev_b32_e32 v15, 4
	v_mov_b32_e32 v16, 0x7ff80000
	s_xor_b32 exec_lo, exec_lo, s7
; %bb.1655:
	v_cmp_ne_u16_e32 vcc_lo, 0, v3
	v_mov_b32_e32 v15, 0
	v_mov_b32_e32 v16, 0
	s_andn2_b32 s6, s6, exec_lo
	s_and_b32 s10, vcc_lo, exec_lo
	s_or_b32 s6, s6, s10
; %bb.1656:
	s_or_b32 exec_lo, exec_lo, s7
	s_and_saveexec_b32 s7, s6
	s_cbranch_execz .LBB9_1658
; %bb.1657:
	v_and_b32_e32 v7, 0xffff, v3
	v_lshlrev_b32_e32 v3, 24, v3
	v_and_b32_e32 v13, 7, v7
	v_bfe_u32 v17, v7, 3, 4
	v_and_b32_e32 v3, 0x80000000, v3
	v_ffbh_u32_e32 v15, v13
	v_cmp_eq_u32_e32 vcc_lo, 0, v17
	v_min_u32_e32 v15, 32, v15
	v_subrev_nc_u32_e32 v16, 28, v15
	v_sub_nc_u32_e32 v15, 29, v15
	v_lshlrev_b32_e32 v7, v16, v7
	v_cndmask_b32_e32 v15, v17, v15, vcc_lo
	v_and_b32_e32 v7, 7, v7
	v_cndmask_b32_e32 v7, v13, v7, vcc_lo
	v_lshl_add_u32 v13, v15, 23, 0x3b800000
	v_lshlrev_b32_e32 v7, 20, v7
	v_or3_b32 v3, v3, v13, v7
	v_cvt_f64_f32_e32 v[15:16], v3
.LBB9_1658:
	s_or_b32 exec_lo, exec_lo, s7
.LBB9_1659:
	s_mov_b32 s6, -1
.LBB9_1660:
	s_mov_b32 s7, 0
.LBB9_1661:
	s_and_b32 vcc_lo, exec_lo, s7
	s_cbranch_vccz .LBB9_1692
; %bb.1662:
	s_cmp_gt_i32 s0, 22
	s_cbranch_scc0 .LBB9_1674
; %bb.1663:
	s_cmp_lt_i32 s0, 24
	s_cbranch_scc1 .LBB9_1675
; %bb.1664:
	s_cmp_gt_i32 s0, 24
	s_cbranch_scc0 .LBB9_1676
; %bb.1665:
	global_load_ubyte v3, v[11:12], off
	s_mov_b32 s6, exec_lo
	s_waitcnt vmcnt(0)
	v_cmpx_lt_i16_e32 0x7f, v3
	s_xor_b32 s6, exec_lo, s6
	s_cbranch_execz .LBB9_1669
; %bb.1666:
	s_mov_b32 s5, -1
	s_mov_b32 s7, exec_lo
	v_cmpx_eq_u16_e32 0x80, v3
; %bb.1667:
	s_xor_b32 s5, exec_lo, -1
; %bb.1668:
	s_or_b32 exec_lo, exec_lo, s7
	s_and_b32 s5, s5, exec_lo
.LBB9_1669:
	s_or_saveexec_b32 s6, s6
	v_bfrev_b32_e32 v15, 4
	v_mov_b32_e32 v16, 0x7ff80000
	s_xor_b32 exec_lo, exec_lo, s6
; %bb.1670:
	v_cmp_ne_u16_e32 vcc_lo, 0, v3
	v_mov_b32_e32 v15, 0
	v_mov_b32_e32 v16, 0
	s_andn2_b32 s5, s5, exec_lo
	s_and_b32 s7, vcc_lo, exec_lo
	s_or_b32 s5, s5, s7
; %bb.1671:
	s_or_b32 exec_lo, exec_lo, s6
	s_and_saveexec_b32 s6, s5
	s_cbranch_execz .LBB9_1673
; %bb.1672:
	v_and_b32_e32 v7, 0xffff, v3
	v_lshlrev_b32_e32 v3, 24, v3
	v_and_b32_e32 v13, 3, v7
	v_bfe_u32 v17, v7, 2, 5
	v_and_b32_e32 v3, 0x80000000, v3
	v_ffbh_u32_e32 v15, v13
	v_cmp_eq_u32_e32 vcc_lo, 0, v17
	v_min_u32_e32 v15, 32, v15
	v_subrev_nc_u32_e32 v16, 29, v15
	v_sub_nc_u32_e32 v15, 30, v15
	v_lshlrev_b32_e32 v7, v16, v7
	v_cndmask_b32_e32 v15, v17, v15, vcc_lo
	v_and_b32_e32 v7, 3, v7
	v_cndmask_b32_e32 v7, v13, v7, vcc_lo
	v_lshl_add_u32 v13, v15, 23, 0x37800000
	v_lshlrev_b32_e32 v7, 21, v7
	v_or3_b32 v3, v3, v13, v7
	v_cvt_f64_f32_e32 v[15:16], v3
.LBB9_1673:
	s_or_b32 exec_lo, exec_lo, s6
	s_mov_b32 s5, 0
	s_branch .LBB9_1677
.LBB9_1674:
	s_mov_b32 s5, -1
                                        ; implicit-def: $vgpr15_vgpr16
	s_branch .LBB9_1683
.LBB9_1675:
	s_mov_b32 s5, -1
                                        ; implicit-def: $vgpr15_vgpr16
	s_branch .LBB9_1680
.LBB9_1676:
	s_mov_b32 s5, -1
                                        ; implicit-def: $vgpr15_vgpr16
.LBB9_1677:
	s_and_b32 vcc_lo, exec_lo, s5
	s_cbranch_vccz .LBB9_1679
; %bb.1678:
	global_load_ubyte v3, v[11:12], off
	s_waitcnt vmcnt(0)
	v_lshlrev_b32_e32 v3, 24, v3
	v_and_b32_e32 v7, 0x7f000000, v3
	v_ffbh_u32_e32 v13, v7
	v_add_nc_u32_e32 v16, 0x1000000, v7
	v_cmp_ne_u32_e32 vcc_lo, 0, v7
	v_min_u32_e32 v13, 32, v13
	v_sub_nc_u32_e64 v13, v13, 4 clamp
	v_lshlrev_b32_e32 v15, v13, v7
	v_lshlrev_b32_e32 v13, 23, v13
	v_lshrrev_b32_e32 v15, 4, v15
	v_sub_nc_u32_e32 v13, v15, v13
	v_ashrrev_i32_e32 v15, 8, v16
	v_add_nc_u32_e32 v13, 0x3c000000, v13
	v_and_or_b32 v13, 0x7f800000, v15, v13
	v_cndmask_b32_e32 v7, 0, v13, vcc_lo
	v_and_or_b32 v3, 0x80000000, v3, v7
	v_cvt_f64_f32_e32 v[15:16], v3
.LBB9_1679:
	s_mov_b32 s5, 0
.LBB9_1680:
	s_andn2_b32 vcc_lo, exec_lo, s5
	s_cbranch_vccnz .LBB9_1682
; %bb.1681:
	global_load_ubyte v3, v[11:12], off
	s_waitcnt vmcnt(0)
	v_lshlrev_b32_e32 v7, 25, v3
	v_lshlrev_b16 v3, 8, v3
	v_lshrrev_b32_e32 v13, 4, v7
	v_and_or_b32 v15, 0x7f00, v3, 0.5
	v_cmp_gt_u32_e32 vcc_lo, 0x8000000, v7
	v_bfe_i32 v3, v3, 0, 16
	v_or_b32_e32 v13, 0x70000000, v13
	v_add_f32_e32 v15, -0.5, v15
	v_mul_f32_e32 v13, 0x7800000, v13
	v_cndmask_b32_e32 v7, v13, v15, vcc_lo
	v_and_or_b32 v3, 0x80000000, v3, v7
	v_cvt_f64_f32_e32 v[15:16], v3
.LBB9_1682:
	s_mov_b32 s5, 0
	s_mov_b32 s6, -1
.LBB9_1683:
	s_andn2_b32 vcc_lo, exec_lo, s5
	s_mov_b32 s5, 0
	s_cbranch_vccnz .LBB9_1692
; %bb.1684:
	s_cmp_gt_i32 s0, 14
	s_cbranch_scc0 .LBB9_1687
; %bb.1685:
	s_cmp_eq_u32 s0, 15
	s_cbranch_scc0 .LBB9_1688
; %bb.1686:
	global_load_ushort v3, v[11:12], off
	s_mov_b32 s4, 0
	s_mov_b32 s6, -1
	s_waitcnt vmcnt(0)
	v_lshlrev_b32_e32 v3, 16, v3
	v_cvt_f64_f32_e32 v[15:16], v3
	s_branch .LBB9_1690
.LBB9_1687:
	s_mov_b32 s5, -1
	s_branch .LBB9_1689
.LBB9_1688:
	s_mov_b32 s4, -1
.LBB9_1689:
                                        ; implicit-def: $vgpr15_vgpr16
.LBB9_1690:
	s_and_b32 vcc_lo, exec_lo, s5
	s_mov_b32 s5, 0
	s_cbranch_vccz .LBB9_1692
; %bb.1691:
	s_cmp_lg_u32 s0, 11
	s_mov_b32 s5, -1
	s_cselect_b32 s4, -1, 0
.LBB9_1692:
	s_and_b32 vcc_lo, exec_lo, s4
	s_cbranch_vccnz .LBB9_2238
; %bb.1693:
	s_andn2_b32 vcc_lo, exec_lo, s5
	s_cbranch_vccnz .LBB9_1695
.LBB9_1694:
	global_load_ubyte v3, v[11:12], off
	v_mov_b32_e32 v15, 0
	s_mov_b32 s6, -1
	s_waitcnt vmcnt(0)
	v_cmp_ne_u16_e32 vcc_lo, 0, v3
	v_cndmask_b32_e64 v16, 0, 0x3ff00000, vcc_lo
.LBB9_1695:
	s_mov_b32 s0, 0
.LBB9_1696:
	s_and_b32 vcc_lo, exec_lo, s0
	s_cbranch_vccz .LBB9_1745
; %bb.1697:
	s_and_b32 s0, 0xffff, s3
	s_cmp_lt_i32 s0, 5
	s_cbranch_scc1 .LBB9_1702
; %bb.1698:
	s_cmp_lt_i32 s0, 8
	s_cbranch_scc1 .LBB9_1703
; %bb.1699:
	;; [unrolled: 3-line block ×3, first 2 shown]
	s_cmp_gt_i32 s0, 9
	s_cbranch_scc0 .LBB9_1705
; %bb.1701:
	global_load_dwordx2 v[15:16], v[11:12], off
	s_mov_b32 s3, 0
	s_branch .LBB9_1706
.LBB9_1702:
	s_mov_b32 s3, -1
                                        ; implicit-def: $vgpr15_vgpr16
	s_branch .LBB9_1724
.LBB9_1703:
	s_mov_b32 s3, -1
                                        ; implicit-def: $vgpr15_vgpr16
	s_branch .LBB9_1712
.LBB9_1704:
	s_mov_b32 s3, -1
                                        ; implicit-def: $vgpr15_vgpr16
	s_branch .LBB9_1709
.LBB9_1705:
	s_mov_b32 s3, -1
                                        ; implicit-def: $vgpr15_vgpr16
.LBB9_1706:
	s_andn2_b32 vcc_lo, exec_lo, s3
	s_cbranch_vccnz .LBB9_1708
; %bb.1707:
	global_load_dword v3, v[11:12], off
	s_waitcnt vmcnt(0)
	v_cvt_f64_f32_e32 v[15:16], v3
.LBB9_1708:
	s_mov_b32 s3, 0
.LBB9_1709:
	s_andn2_b32 vcc_lo, exec_lo, s3
	s_cbranch_vccnz .LBB9_1711
; %bb.1710:
	global_load_dword v3, v[11:12], off
	s_waitcnt vmcnt(0)
	v_cvt_f32_f16_e32 v3, v3
	v_cvt_f64_f32_e32 v[15:16], v3
.LBB9_1711:
	s_mov_b32 s3, 0
.LBB9_1712:
	s_andn2_b32 vcc_lo, exec_lo, s3
	s_cbranch_vccnz .LBB9_1723
; %bb.1713:
	s_cmp_lt_i32 s0, 6
	s_cbranch_scc1 .LBB9_1716
; %bb.1714:
	s_cmp_gt_i32 s0, 6
	s_cbranch_scc0 .LBB9_1717
; %bb.1715:
	global_load_dwordx2 v[15:16], v[11:12], off
	s_mov_b32 s3, 0
	s_branch .LBB9_1718
.LBB9_1716:
	s_mov_b32 s3, -1
                                        ; implicit-def: $vgpr15_vgpr16
	s_branch .LBB9_1721
.LBB9_1717:
	s_mov_b32 s3, -1
                                        ; implicit-def: $vgpr15_vgpr16
.LBB9_1718:
	s_andn2_b32 vcc_lo, exec_lo, s3
	s_cbranch_vccnz .LBB9_1720
; %bb.1719:
	global_load_dword v3, v[11:12], off
	s_waitcnt vmcnt(0)
	v_cvt_f64_f32_e32 v[15:16], v3
.LBB9_1720:
	s_mov_b32 s3, 0
.LBB9_1721:
	s_andn2_b32 vcc_lo, exec_lo, s3
	s_cbranch_vccnz .LBB9_1723
; %bb.1722:
	global_load_ushort v3, v[11:12], off
	s_waitcnt vmcnt(0)
	v_cvt_f32_f16_e32 v3, v3
	v_cvt_f64_f32_e32 v[15:16], v3
.LBB9_1723:
	s_mov_b32 s3, 0
.LBB9_1724:
	s_andn2_b32 vcc_lo, exec_lo, s3
	s_cbranch_vccnz .LBB9_1744
; %bb.1725:
	s_cmp_lt_i32 s0, 2
	s_cbranch_scc1 .LBB9_1729
; %bb.1726:
	s_cmp_lt_i32 s0, 3
	s_cbranch_scc1 .LBB9_1730
; %bb.1727:
	s_cmp_gt_i32 s0, 3
	s_cbranch_scc0 .LBB9_1731
; %bb.1728:
	global_load_dwordx2 v[15:16], v[11:12], off
	s_mov_b32 s3, 0
	s_waitcnt vmcnt(0)
	v_cvt_f64_i32_e32 v[16:17], v16
	v_cvt_f64_u32_e32 v[18:19], v15
	v_ldexp_f64 v[16:17], v[16:17], 32
	v_add_f64 v[15:16], v[16:17], v[18:19]
	s_branch .LBB9_1732
.LBB9_1729:
	s_mov_b32 s3, -1
                                        ; implicit-def: $vgpr15_vgpr16
	s_branch .LBB9_1738
.LBB9_1730:
	s_mov_b32 s3, -1
                                        ; implicit-def: $vgpr15_vgpr16
	s_branch .LBB9_1735
.LBB9_1731:
	s_mov_b32 s3, -1
                                        ; implicit-def: $vgpr15_vgpr16
.LBB9_1732:
	s_andn2_b32 vcc_lo, exec_lo, s3
	s_cbranch_vccnz .LBB9_1734
; %bb.1733:
	global_load_dword v3, v[11:12], off
	s_waitcnt vmcnt(0)
	v_cvt_f64_i32_e32 v[15:16], v3
.LBB9_1734:
	s_mov_b32 s3, 0
.LBB9_1735:
	s_andn2_b32 vcc_lo, exec_lo, s3
	s_cbranch_vccnz .LBB9_1737
; %bb.1736:
	global_load_sshort v3, v[11:12], off
	s_waitcnt vmcnt(0)
	v_cvt_f64_i32_e32 v[15:16], v3
.LBB9_1737:
	s_mov_b32 s3, 0
.LBB9_1738:
	s_andn2_b32 vcc_lo, exec_lo, s3
	s_cbranch_vccnz .LBB9_1744
; %bb.1739:
	s_cmp_gt_i32 s0, 0
	s_mov_b32 s0, 0
	s_cbranch_scc0 .LBB9_1741
; %bb.1740:
	global_load_sbyte v3, v[11:12], off
	s_waitcnt vmcnt(0)
	v_cvt_f64_i32_e32 v[15:16], v3
	s_branch .LBB9_1742
.LBB9_1741:
	s_mov_b32 s0, -1
                                        ; implicit-def: $vgpr15_vgpr16
.LBB9_1742:
	s_andn2_b32 vcc_lo, exec_lo, s0
	s_cbranch_vccnz .LBB9_1744
; %bb.1743:
	global_load_ubyte v3, v[11:12], off
	s_waitcnt vmcnt(0)
	v_cvt_f64_u32_e32 v[15:16], v3
.LBB9_1744:
	s_mov_b32 s6, -1
.LBB9_1745:
	s_andn2_b32 vcc_lo, exec_lo, s6
	s_cbranch_vccnz .LBB9_1836
; %bb.1746:
	s_waitcnt vmcnt(0)
	v_cmp_ge_f64_e64 s0, 0x40200000, |v[15:16]|
                                        ; implicit-def: $vgpr12_vgpr13
	s_and_saveexec_b32 s3, s0
	s_xor_b32 s0, exec_lo, s3
	s_cbranch_execz .LBB9_1752
; %bb.1747:
	v_fma_f64 v[11:12], |v[15:16]|, 0.5, -2.0
	s_mov_b32 s4, 0xc38a0576
	s_mov_b32 s5, 0xbc7857d0
	;; [unrolled: 1-line block ×4, first 2 shown]
	s_mov_b32 s3, exec_lo
	v_fma_f64 v[17:18], v[11:12], s[6:7], s[4:5]
	s_mov_b32 s7, 0xbc499f2a
	s_mov_b32 s4, 0xe593bfac
	;; [unrolled: 1-line block ×3, first 2 shown]
	v_fma_f64 v[19:20], v[11:12], v[17:18], s[6:7]
	s_mov_b32 s6, 0x3b39803f
	s_mov_b32 s7, 0xbc7abc9e
	v_add_f64 v[19:20], v[19:20], s[4:5]
	s_mov_b32 s4, 0x7e0d1573
	s_mov_b32 s5, 0xbcd3eaaa
	v_fma_f64 v[17:18], v[11:12], v[19:20], -v[17:18]
	v_add_f64 v[17:18], v[17:18], s[4:5]
	s_mov_b32 s4, 0x615290c
	s_mov_b32 s5, 0x3d011d7f
	v_fma_f64 v[19:20], v[11:12], v[17:18], -v[19:20]
	;; [unrolled: 4-line block ×20, first 2 shown]
	v_add_f64 v[19:20], v[19:20], s[4:5]
	s_mov_b32 s4, 0x652b82fe
	s_mov_b32 s5, 0x3ff71547
	v_mul_f64 v[21:22], |v[15:16]|, s[4:5]
	s_mov_b32 s4, 0x7913a26a
	s_mov_b32 s5, 0xbf85a29f
	v_fma_f64 v[17:18], v[11:12], v[19:20], -v[17:18]
	v_rndne_f64_e32 v[21:22], v[21:22]
	v_add_f64 v[17:18], v[17:18], s[4:5]
	s_mov_b32 s4, 0xfefa39ef
	s_mov_b32 s5, 0xbfe62e42
	v_fma_f64 v[23:24], v[21:22], s[4:5], |v[15:16]|
	s_mov_b32 s4, 0xe7bb2349
	s_mov_b32 s5, 0x3f9951e3
	v_cvt_i32_f64_e32 v3, v[21:22]
	v_fma_f64 v[19:20], v[11:12], v[17:18], -v[19:20]
	v_fma_f64 v[23:24], v[21:22], s[6:7], v[23:24]
	s_mov_b32 s6, 0x6a5dcb37
	s_mov_b32 s7, 0x3e5ade15
	v_add_f64 v[19:20], v[19:20], s[4:5]
	s_mov_b32 s4, 0xfca7ab0c
	s_mov_b32 s5, 0x3e928af3
	v_fma_f64 v[25:26], v[23:24], s[6:7], s[4:5]
	s_mov_b32 s4, 0x537c9ebc
	s_mov_b32 s6, 0x623fde64
	;; [unrolled: 1-line block ×4, first 2 shown]
	v_fma_f64 v[17:18], v[11:12], v[19:20], -v[17:18]
	v_fma_f64 v[25:26], v[23:24], v[25:26], s[6:7]
	s_mov_b32 s6, 0x14761f6e
	s_mov_b32 s7, 0x3f2a01a0
	v_add_f64 v[17:18], v[17:18], s[4:5]
	s_mov_b32 s4, 0x7c89e6b0
	s_mov_b32 s5, 0x3efa0199
	v_fma_f64 v[25:26], v[23:24], v[25:26], s[4:5]
	s_mov_b32 s4, 0xd536f53c
	s_mov_b32 s5, 0x3fba46da
	v_fma_f64 v[19:20], v[11:12], v[17:18], -v[19:20]
	v_fma_f64 v[25:26], v[23:24], v[25:26], s[6:7]
	s_mov_b32 s6, 0x11122322
	s_mov_b32 s7, 0x3f811111
	v_add_f64 v[19:20], v[19:20], s[4:5]
	s_mov_b32 s4, 0x1852b7b0
	s_mov_b32 s5, 0x3f56c16c
	v_fma_f64 v[25:26], v[23:24], v[25:26], s[4:5]
	s_mov_b32 s4, 0x469192e
	s_mov_b32 s5, 0xbfc694d1
	;; [unrolled: 10-line block ×3, first 2 shown]
	v_fma_f64 v[11:12], v[11:12], v[17:18], -v[19:20]
	v_fma_f64 v[17:18], v[23:24], v[25:26], s[6:7]
	v_add_f64 v[11:12], v[11:12], s[4:5]
	s_mov_b32 s4, 11
	s_mov_b32 s5, 0x3fe00000
	v_fma_f64 v[17:18], v[23:24], v[17:18], s[4:5]
	v_add_f64 v[11:12], v[11:12], -v[19:20]
	v_fma_f64 v[17:18], v[23:24], v[17:18], 1.0
	v_mul_f64 v[11:12], v[11:12], 0.5
	v_fma_f64 v[19:20], v[23:24], v[17:18], 1.0
	v_mul_f64 v[17:18], |v[15:16]|, v[11:12]
                                        ; implicit-def: $vgpr12_vgpr13
	v_cmpx_ngt_f64_e32 0, v[15:16]
	s_xor_b32 s3, exec_lo, s3
	s_cbranch_execz .LBB9_1749
; %bb.1748:
	v_ldexp_f64 v[11:12], v[19:20], v3
	v_cmp_nlt_f64_e64 vcc_lo, 0x40900000, |v[15:16]|
                                        ; implicit-def: $vgpr19_vgpr20
                                        ; implicit-def: $vgpr3
                                        ; implicit-def: $vgpr15_vgpr16
	v_cndmask_b32_e32 v12, 0x7ff00000, v12, vcc_lo
	v_cndmask_b32_e32 v11, 0, v11, vcc_lo
	v_mul_f64 v[12:13], v[11:12], v[17:18]
                                        ; implicit-def: $vgpr17_vgpr18
.LBB9_1749:
	s_andn2_saveexec_b32 s3, s3
	s_cbranch_execz .LBB9_1751
; %bb.1750:
	v_ldexp_f64 v[11:12], -v[19:20], v3
	v_cmp_nlt_f64_e64 vcc_lo, 0x40900000, |v[15:16]|
	v_cndmask_b32_e32 v12, 0xfff00000, v12, vcc_lo
	v_cndmask_b32_e32 v11, 0, v11, vcc_lo
	v_mul_f64 v[12:13], v[11:12], v[17:18]
.LBB9_1751:
	s_or_b32 exec_lo, exec_lo, s3
                                        ; implicit-def: $vgpr15_vgpr16
.LBB9_1752:
	s_andn2_saveexec_b32 s3, s0
	s_cbranch_execz .LBB9_1758
; %bb.1753:
	v_and_b32_e32 v12, 0x7fffffff, v16
	v_mov_b32_e32 v11, v15
	s_mov_b32 s4, 0xea87b950
	s_mov_b32 s5, 0x3c545b8a
	s_mov_b32 s7, 0x3c61556d
	s_mov_b32 s6, 0xb352e8e6
	v_div_scale_f64 v[17:18], null, v[11:12], v[11:12], 0x40400000
	v_div_scale_f64 v[11:12], vcc_lo, 0x40400000, v[11:12], 0x40400000
	v_cmp_ngt_f64_e64 s0, 0, v[15:16]
	v_rcp_f64_e32 v[19:20], v[17:18]
	v_fma_f64 v[21:22], -v[17:18], v[19:20], 1.0
	v_fma_f64 v[19:20], v[19:20], v[21:22], v[19:20]
	v_fma_f64 v[21:22], -v[17:18], v[19:20], 1.0
	v_fma_f64 v[19:20], v[19:20], v[21:22], v[19:20]
	v_mul_f64 v[21:22], v[11:12], v[19:20]
	v_fma_f64 v[11:12], -v[17:18], v[21:22], v[11:12]
	v_div_fmas_f64 v[11:12], v[11:12], v[19:20], v[21:22]
	v_cmp_nlt_f64_e64 vcc_lo, 0x40900000, |v[15:16]|
	v_div_fixup_f64 v[11:12], v[11:12], |v[15:16]|, 0x40400000
	v_add_f64 v[11:12], v[11:12], -2.0
	v_fma_f64 v[17:18], v[11:12], s[6:7], s[4:5]
	s_mov_b32 s7, 0xbc61556d
	s_mov_b32 s4, 0xb2532277
	;; [unrolled: 1-line block ×3, first 2 shown]
	v_fma_f64 v[19:20], v[11:12], v[17:18], s[6:7]
	s_mov_b32 s6, 0x6a5dcb37
	s_mov_b32 s7, 0x3e5ade15
	v_add_f64 v[19:20], v[19:20], s[4:5]
	s_mov_b32 s4, 0x9c773320
	s_mov_b32 s5, 0xbc82806c
	v_fma_f64 v[17:18], v[11:12], v[19:20], -v[17:18]
	v_add_f64 v[17:18], v[17:18], s[4:5]
	s_mov_b32 s4, 0xfceb588a
	s_mov_b32 s5, 0x3cb55915
	v_fma_f64 v[19:20], v[11:12], v[17:18], -v[19:20]
	;; [unrolled: 4-line block ×14, first 2 shown]
	v_add_f64 v[19:20], v[19:20], s[4:5]
	s_mov_b32 s4, 0x652b82fe
	s_mov_b32 s5, 0x3ff71547
	v_mul_f64 v[21:22], |v[15:16]|, s[4:5]
	s_mov_b32 s4, 0x5423dd80
	s_mov_b32 s5, 0xbe0334ca
	v_fma_f64 v[17:18], v[11:12], v[19:20], -v[17:18]
	v_rndne_f64_e32 v[21:22], v[21:22]
	v_add_f64 v[17:18], v[17:18], s[4:5]
	s_mov_b32 s4, 0xfefa39ef
	s_mov_b32 s5, 0xbfe62e42
	v_fma_f64 v[23:24], v[21:22], s[4:5], |v[15:16]|
	s_mov_b32 s4, 0x9ad53528
	s_mov_b32 s5, 0xbe30790b
	v_cvt_i32_f64_e32 v3, v[21:22]
	v_fma_f64 v[19:20], v[11:12], v[17:18], -v[19:20]
	v_add_f64 v[19:20], v[19:20], s[4:5]
	s_mov_b32 s4, 0x3b39803f
	s_mov_b32 s5, 0xbc7abc9e
	v_fma_f64 v[23:24], v[21:22], s[4:5], v[23:24]
	s_mov_b32 s4, 0xfca7ab0c
	s_mov_b32 s5, 0x3e928af3
	v_fma_f64 v[17:18], v[11:12], v[19:20], -v[17:18]
	v_fma_f64 v[25:26], v[23:24], s[6:7], s[4:5]
	s_mov_b32 s4, 0x94bb46c1
	s_mov_b32 s5, 0xbe5c4153
	v_add_f64 v[17:18], v[17:18], s[4:5]
	s_mov_b32 s4, 0x623fde64
	s_mov_b32 s5, 0x3ec71dee
	v_fma_f64 v[25:26], v[23:24], v[25:26], s[4:5]
	s_mov_b32 s4, 0x7c89e6b0
	s_mov_b32 s5, 0x3efa0199
	v_fma_f64 v[19:20], v[11:12], v[17:18], -v[19:20]
	v_fma_f64 v[25:26], v[23:24], v[25:26], s[4:5]
	s_mov_b32 s4, 0x2e9e5443
	s_mov_b32 s5, 0xbe90dbfd
	;; [unrolled: 10-line block ×5, first 2 shown]
	v_add_f64 v[17:18], v[17:18], s[4:5]
	s_mov_b32 s4, 0xb55b1514
	s_mov_b32 s5, 0x3fe8ea18
	v_fma_f64 v[25:26], v[23:24], v[25:26], 1.0
	v_fma_f64 v[11:12], v[11:12], v[17:18], -v[19:20]
	v_fma_f64 v[17:18], v[23:24], v[25:26], 1.0
	v_add_f64 v[11:12], v[11:12], s[4:5]
	v_ldexp_f64 v[17:18], v[17:18], v3
	v_add_f64 v[19:20], v[11:12], -v[19:20]
                                        ; implicit-def: $vgpr12_vgpr13
	v_cndmask_b32_e32 v18, 0x7ff00000, v18, vcc_lo
	v_cndmask_b32_e32 v17, 0, v17, vcc_lo
	s_and_saveexec_b32 s4, s0
	s_xor_b32 s0, exec_lo, s4
	s_cbranch_execz .LBB9_1755
; %bb.1754:
	v_cmp_gt_f64_e64 s4, 0x10000000, |v[15:16]|
	v_mul_f64 v[19:20], v[19:20], 0.5
	v_cndmask_b32_e64 v3, 0, 0x100, s4
	v_mul_f64 v[17:18], v[17:18], v[19:20]
	v_ldexp_f64 v[11:12], |v[15:16]|, v3
	v_cndmask_b32_e64 v3, 0, 0xffffff80, s4
	v_rsq_f64_e32 v[15:16], v[11:12]
	v_cmp_class_f64_e64 vcc_lo, v[11:12], 0x260
	v_mul_f64 v[21:22], v[11:12], v[15:16]
	v_mul_f64 v[15:16], v[15:16], 0.5
	v_fma_f64 v[23:24], -v[15:16], v[21:22], 0.5
	v_fma_f64 v[21:22], v[21:22], v[23:24], v[21:22]
	v_fma_f64 v[15:16], v[15:16], v[23:24], v[15:16]
	v_fma_f64 v[23:24], -v[21:22], v[21:22], v[11:12]
	v_fma_f64 v[21:22], v[23:24], v[15:16], v[21:22]
	v_fma_f64 v[23:24], -v[21:22], v[21:22], v[11:12]
	v_fma_f64 v[15:16], v[23:24], v[15:16], v[21:22]
	v_ldexp_f64 v[15:16], v[15:16], v3
	v_cndmask_b32_e32 v12, v16, v12, vcc_lo
	v_cndmask_b32_e32 v11, v15, v11, vcc_lo
	v_div_scale_f64 v[15:16], null, v[11:12], v[11:12], v[17:18]
	v_rcp_f64_e32 v[19:20], v[15:16]
	v_fma_f64 v[21:22], -v[15:16], v[19:20], 1.0
	v_fma_f64 v[19:20], v[19:20], v[21:22], v[19:20]
	v_fma_f64 v[21:22], -v[15:16], v[19:20], 1.0
	v_fma_f64 v[19:20], v[19:20], v[21:22], v[19:20]
	v_div_scale_f64 v[21:22], vcc_lo, v[17:18], v[11:12], v[17:18]
	v_mul_f64 v[23:24], v[21:22], v[19:20]
	v_fma_f64 v[15:16], -v[15:16], v[23:24], v[21:22]
	v_div_fmas_f64 v[15:16], v[15:16], v[19:20], v[23:24]
                                        ; implicit-def: $vgpr19_vgpr20
	v_div_fixup_f64 v[12:13], v[15:16], v[11:12], v[17:18]
                                        ; implicit-def: $vgpr15_vgpr16
                                        ; implicit-def: $vgpr17_vgpr18
.LBB9_1755:
	s_andn2_saveexec_b32 s0, s0
	s_cbranch_execz .LBB9_1757
; %bb.1756:
	v_cmp_gt_f64_e64 s4, 0x10000000, |v[15:16]|
	v_mul_f64 v[19:20], v[19:20], -0.5
	v_cndmask_b32_e64 v3, 0, 0x100, s4
	v_mul_f64 v[17:18], v[17:18], v[19:20]
	v_ldexp_f64 v[11:12], |v[15:16]|, v3
	v_cndmask_b32_e64 v3, 0, 0xffffff80, s4
	v_rsq_f64_e32 v[15:16], v[11:12]
	v_cmp_class_f64_e64 vcc_lo, v[11:12], 0x260
	v_mul_f64 v[21:22], v[11:12], v[15:16]
	v_mul_f64 v[15:16], v[15:16], 0.5
	v_fma_f64 v[23:24], -v[15:16], v[21:22], 0.5
	v_fma_f64 v[21:22], v[21:22], v[23:24], v[21:22]
	v_fma_f64 v[15:16], v[15:16], v[23:24], v[15:16]
	v_fma_f64 v[23:24], -v[21:22], v[21:22], v[11:12]
	v_fma_f64 v[21:22], v[23:24], v[15:16], v[21:22]
	v_fma_f64 v[23:24], -v[21:22], v[21:22], v[11:12]
	v_fma_f64 v[15:16], v[23:24], v[15:16], v[21:22]
	v_ldexp_f64 v[15:16], v[15:16], v3
	v_cndmask_b32_e32 v12, v16, v12, vcc_lo
	v_cndmask_b32_e32 v11, v15, v11, vcc_lo
	v_div_scale_f64 v[15:16], null, v[11:12], v[11:12], v[17:18]
	v_rcp_f64_e32 v[19:20], v[15:16]
	v_fma_f64 v[21:22], -v[15:16], v[19:20], 1.0
	v_fma_f64 v[19:20], v[19:20], v[21:22], v[19:20]
	v_fma_f64 v[21:22], -v[15:16], v[19:20], 1.0
	v_fma_f64 v[19:20], v[19:20], v[21:22], v[19:20]
	v_div_scale_f64 v[21:22], vcc_lo, v[17:18], v[11:12], v[17:18]
	v_mul_f64 v[23:24], v[21:22], v[19:20]
	v_fma_f64 v[15:16], -v[15:16], v[23:24], v[21:22]
	v_div_fmas_f64 v[15:16], v[15:16], v[19:20], v[23:24]
	v_div_fixup_f64 v[12:13], v[15:16], v[11:12], v[17:18]
.LBB9_1757:
	s_or_b32 exec_lo, exec_lo, s0
.LBB9_1758:
	s_or_b32 exec_lo, exec_lo, s3
	v_add_co_u32 v15, s0, s8, v2
	v_add_co_ci_u32_e64 v16, null, s9, 0, s0
	s_bfe_u32 s3, s2, 0x80008
	s_cmp_lt_i32 s3, 11
	s_cbranch_scc1 .LBB9_1881
; %bb.1759:
	s_and_b32 s4, 0xffff, s3
	s_mov_b32 s7, -1
	s_mov_b32 s5, 0
	s_cmp_gt_i32 s4, 25
	s_mov_b32 s6, 0
	s_mov_b32 s0, 0
	s_cbranch_scc0 .LBB9_1792
; %bb.1760:
	s_cmp_gt_i32 s4, 28
	s_cbranch_scc0 .LBB9_1775
; %bb.1761:
	s_cmp_gt_i32 s4, 43
	;; [unrolled: 3-line block ×3, first 2 shown]
	s_cbranch_scc0 .LBB9_1765
; %bb.1763:
	s_mov_b32 s0, -1
	s_mov_b32 s7, 0
	s_cmp_eq_u32 s4, 46
	s_cbranch_scc0 .LBB9_1765
; %bb.1764:
	v_cvt_f32_f64_e32 v2, v[0:1]
	s_mov_b32 s0, 0
	s_mov_b32 s6, -1
	v_bfe_u32 v3, v2, 16, 1
	v_cmp_o_f32_e32 vcc_lo, v2, v2
	v_add3_u32 v2, v2, v3, 0x7fff
	v_mov_b32_e32 v3, 0x7fc0
	v_cndmask_b32_sdwa v2, v3, v2, vcc_lo dst_sel:DWORD dst_unused:UNUSED_PAD src0_sel:DWORD src1_sel:WORD_1
	global_store_dword v[15:16], v2, off
.LBB9_1765:
	s_and_b32 vcc_lo, exec_lo, s7
	s_cbranch_vccz .LBB9_1770
; %bb.1766:
	s_cmp_eq_u32 s4, 44
	s_mov_b32 s0, -1
	s_cbranch_scc0 .LBB9_1770
; %bb.1767:
	v_cvt_f32_f64_e32 v2, v[0:1]
	v_mov_b32_e32 v3, 0xff
	s_mov_b32 s6, exec_lo
	v_bfe_u32 v7, v2, 23, 8
	v_cmpx_ne_u32_e32 0xff, v7
	s_cbranch_execz .LBB9_1769
; %bb.1768:
	v_and_b32_e32 v3, 0x400000, v2
	v_and_or_b32 v7, 0x3fffff, v2, v7
	v_lshrrev_b32_e32 v2, 23, v2
	v_cmp_ne_u32_e32 vcc_lo, 0, v3
	v_cmp_ne_u32_e64 s0, 0, v7
	s_and_b32 s0, vcc_lo, s0
	v_cndmask_b32_e64 v3, 0, 1, s0
	v_add_nc_u32_e32 v3, v2, v3
.LBB9_1769:
	s_or_b32 exec_lo, exec_lo, s6
	s_mov_b32 s0, 0
	s_mov_b32 s6, -1
	global_store_byte v[15:16], v3, off
.LBB9_1770:
	s_mov_b32 s7, 0
.LBB9_1771:
	s_and_b32 vcc_lo, exec_lo, s7
	s_cbranch_vccz .LBB9_1774
; %bb.1772:
	s_cmp_eq_u32 s4, 29
	s_mov_b32 s0, -1
	s_cbranch_scc0 .LBB9_1774
; %bb.1773:
	v_trunc_f64_e32 v[2:3], v[0:1]
	s_mov_b32 s0, 0
	s_mov_b32 s6, -1
	v_ldexp_f64 v[17:18], v[2:3], 0xffffffe0
	v_floor_f64_e32 v[17:18], v[17:18]
	v_fma_f64 v[2:3], 0xc1f00000, v[17:18], v[2:3]
	v_cvt_u32_f64_e32 v18, v[17:18]
	v_cvt_u32_f64_e32 v17, v[2:3]
	global_store_dwordx2 v[15:16], v[17:18], off
.LBB9_1774:
	s_mov_b32 s7, 0
.LBB9_1775:
	s_and_b32 vcc_lo, exec_lo, s7
	s_cbranch_vccz .LBB9_1791
; %bb.1776:
	s_cmp_lt_i32 s4, 27
	s_mov_b32 s6, -1
	s_cbranch_scc1 .LBB9_1782
; %bb.1777:
	v_cvt_u32_f64_e32 v2, v[0:1]
	s_cmp_gt_i32 s4, 27
	s_cbranch_scc0 .LBB9_1779
; %bb.1778:
	s_mov_b32 s6, 0
	global_store_dword v[15:16], v2, off
.LBB9_1779:
	s_andn2_b32 vcc_lo, exec_lo, s6
	s_cbranch_vccnz .LBB9_1781
; %bb.1780:
	global_store_short v[15:16], v2, off
.LBB9_1781:
	s_mov_b32 s6, 0
.LBB9_1782:
	s_andn2_b32 vcc_lo, exec_lo, s6
	s_cbranch_vccnz .LBB9_1790
; %bb.1783:
	v_cvt_f32_f64_e32 v2, v[0:1]
	v_mov_b32_e32 v7, 0x80
	s_mov_b32 s6, exec_lo
	v_and_b32_e32 v3, 0x7fffffff, v2
	v_cmpx_gt_u32_e32 0x43800000, v3
	s_cbranch_execz .LBB9_1789
; %bb.1784:
	v_cmp_lt_u32_e32 vcc_lo, 0x3bffffff, v3
	s_mov_b32 s7, 0
                                        ; implicit-def: $vgpr3
	s_and_saveexec_b32 s10, vcc_lo
	s_xor_b32 s10, exec_lo, s10
	s_cbranch_execz .LBB9_2239
; %bb.1785:
	v_bfe_u32 v3, v2, 20, 1
	s_mov_b32 s7, exec_lo
	v_add3_u32 v3, v2, v3, 0x487ffff
	v_lshrrev_b32_e32 v3, 20, v3
	s_andn2_saveexec_b32 s10, s10
	s_cbranch_execnz .LBB9_2240
.LBB9_1786:
	s_or_b32 exec_lo, exec_lo, s10
	v_mov_b32_e32 v7, 0
	s_and_saveexec_b32 s10, s7
.LBB9_1787:
	v_lshrrev_b32_e32 v2, 24, v2
	v_and_or_b32 v7, 0x80, v2, v3
.LBB9_1788:
	s_or_b32 exec_lo, exec_lo, s10
.LBB9_1789:
	s_or_b32 exec_lo, exec_lo, s6
	global_store_byte v[15:16], v7, off
.LBB9_1790:
	s_mov_b32 s6, -1
.LBB9_1791:
	s_mov_b32 s7, 0
.LBB9_1792:
	s_and_b32 vcc_lo, exec_lo, s7
	s_cbranch_vccz .LBB9_1832
; %bb.1793:
	s_cmp_gt_i32 s4, 22
	s_mov_b32 s5, -1
	s_cbranch_scc0 .LBB9_1825
; %bb.1794:
	s_cmp_lt_i32 s4, 24
	s_cbranch_scc1 .LBB9_1814
; %bb.1795:
	s_cmp_gt_i32 s4, 24
	s_cbranch_scc0 .LBB9_1803
; %bb.1796:
	v_cvt_f32_f64_e32 v2, v[0:1]
	v_mov_b32_e32 v7, 0x80
	s_mov_b32 s5, exec_lo
	v_and_b32_e32 v3, 0x7fffffff, v2
	v_cmpx_gt_u32_e32 0x47800000, v3
	s_cbranch_execz .LBB9_1802
; %bb.1797:
	v_cmp_lt_u32_e32 vcc_lo, 0x37ffffff, v3
	s_mov_b32 s6, 0
                                        ; implicit-def: $vgpr3
	s_and_saveexec_b32 s7, vcc_lo
	s_xor_b32 s7, exec_lo, s7
	s_cbranch_execz .LBB9_2242
; %bb.1798:
	v_bfe_u32 v3, v2, 21, 1
	s_mov_b32 s6, exec_lo
	v_add3_u32 v3, v2, v3, 0x88fffff
	v_lshrrev_b32_e32 v3, 21, v3
	s_andn2_saveexec_b32 s7, s7
	s_cbranch_execnz .LBB9_2243
.LBB9_1799:
	s_or_b32 exec_lo, exec_lo, s7
	v_mov_b32_e32 v7, 0
	s_and_saveexec_b32 s7, s6
.LBB9_1800:
	v_lshrrev_b32_e32 v2, 24, v2
	v_and_or_b32 v7, 0x80, v2, v3
.LBB9_1801:
	s_or_b32 exec_lo, exec_lo, s7
.LBB9_1802:
	s_or_b32 exec_lo, exec_lo, s5
	s_mov_b32 s5, 0
	global_store_byte v[15:16], v7, off
.LBB9_1803:
	s_and_b32 vcc_lo, exec_lo, s5
	s_cbranch_vccz .LBB9_1813
; %bb.1804:
	v_cvt_f32_f64_e32 v2, v[0:1]
	s_mov_b32 s5, exec_lo
                                        ; implicit-def: $vgpr3
	v_and_b32_e32 v7, 0x7fffffff, v2
	v_cmpx_gt_u32_e32 0x43f00000, v7
	s_xor_b32 s5, exec_lo, s5
	s_cbranch_execz .LBB9_1810
; %bb.1805:
	s_mov_b32 s6, exec_lo
                                        ; implicit-def: $vgpr3
	v_cmpx_lt_u32_e32 0x3c7fffff, v7
	s_xor_b32 s6, exec_lo, s6
; %bb.1806:
	v_bfe_u32 v3, v2, 20, 1
	v_add3_u32 v3, v2, v3, 0x407ffff
	v_and_b32_e32 v7, 0xff00000, v3
	v_lshrrev_b32_e32 v3, 20, v3
	v_cmp_ne_u32_e32 vcc_lo, 0x7f00000, v7
	v_cndmask_b32_e32 v3, 0x7e, v3, vcc_lo
; %bb.1807:
	s_andn2_saveexec_b32 s6, s6
; %bb.1808:
	v_add_f32_e64 v3, 0x46800000, |v2|
; %bb.1809:
	s_or_b32 exec_lo, exec_lo, s6
                                        ; implicit-def: $vgpr7
.LBB9_1810:
	s_andn2_saveexec_b32 s5, s5
; %bb.1811:
	v_mov_b32_e32 v3, 0x7f
	v_cmp_lt_u32_e32 vcc_lo, 0x7f800000, v7
	v_cndmask_b32_e32 v3, 0x7e, v3, vcc_lo
; %bb.1812:
	s_or_b32 exec_lo, exec_lo, s5
	v_lshrrev_b32_e32 v2, 24, v2
	v_and_or_b32 v2, 0x80, v2, v3
	global_store_byte v[15:16], v2, off
.LBB9_1813:
	s_mov_b32 s5, 0
.LBB9_1814:
	s_andn2_b32 vcc_lo, exec_lo, s5
	s_cbranch_vccnz .LBB9_1824
; %bb.1815:
	v_cvt_f32_f64_e32 v2, v[0:1]
	s_mov_b32 s5, exec_lo
                                        ; implicit-def: $vgpr3
	v_and_b32_e32 v7, 0x7fffffff, v2
	v_cmpx_gt_u32_e32 0x47800000, v7
	s_xor_b32 s5, exec_lo, s5
	s_cbranch_execz .LBB9_1821
; %bb.1816:
	s_mov_b32 s6, exec_lo
                                        ; implicit-def: $vgpr3
	v_cmpx_lt_u32_e32 0x387fffff, v7
	s_xor_b32 s6, exec_lo, s6
; %bb.1817:
	v_bfe_u32 v3, v2, 21, 1
	v_add3_u32 v3, v2, v3, 0x80fffff
	v_lshrrev_b32_e32 v3, 21, v3
; %bb.1818:
	s_andn2_saveexec_b32 s6, s6
; %bb.1819:
	v_add_f32_e64 v3, 0x43000000, |v2|
; %bb.1820:
	s_or_b32 exec_lo, exec_lo, s6
                                        ; implicit-def: $vgpr7
.LBB9_1821:
	s_andn2_saveexec_b32 s5, s5
; %bb.1822:
	v_mov_b32_e32 v3, 0x7f
	v_cmp_lt_u32_e32 vcc_lo, 0x7f800000, v7
	v_cndmask_b32_e32 v3, 0x7c, v3, vcc_lo
; %bb.1823:
	s_or_b32 exec_lo, exec_lo, s5
	v_lshrrev_b32_e32 v2, 24, v2
	v_and_or_b32 v2, 0x80, v2, v3
	global_store_byte v[15:16], v2, off
.LBB9_1824:
	s_mov_b32 s5, 0
	s_mov_b32 s6, -1
.LBB9_1825:
	s_andn2_b32 vcc_lo, exec_lo, s5
	s_mov_b32 s5, 0
	s_cbranch_vccnz .LBB9_1832
; %bb.1826:
	s_cmp_gt_i32 s4, 14
	s_mov_b32 s5, -1
	s_cbranch_scc0 .LBB9_1830
; %bb.1827:
	s_cmp_eq_u32 s4, 15
	s_mov_b32 s0, -1
	s_cbranch_scc0 .LBB9_1829
; %bb.1828:
	v_cvt_f32_f64_e32 v2, v[0:1]
	s_mov_b32 s0, 0
	s_mov_b32 s6, -1
	v_bfe_u32 v3, v2, 16, 1
	v_cmp_o_f32_e32 vcc_lo, v2, v2
	v_add3_u32 v2, v2, v3, 0x7fff
	v_mov_b32_e32 v3, 0x7fc0
	v_cndmask_b32_sdwa v2, v3, v2, vcc_lo dst_sel:DWORD dst_unused:UNUSED_PAD src0_sel:DWORD src1_sel:WORD_1
	global_store_short v[15:16], v2, off
.LBB9_1829:
	s_mov_b32 s5, 0
.LBB9_1830:
	s_and_b32 vcc_lo, exec_lo, s5
	s_mov_b32 s5, 0
	s_cbranch_vccz .LBB9_1832
; %bb.1831:
	s_cmp_lg_u32 s4, 11
	s_mov_b32 s5, -1
	s_cselect_b32 s0, -1, 0
.LBB9_1832:
	s_and_b32 vcc_lo, exec_lo, s0
	s_cbranch_vccnz .LBB9_2241
; %bb.1833:
	s_andn2_b32 vcc_lo, exec_lo, s5
	s_cbranch_vccnz .LBB9_1835
.LBB9_1834:
	v_cmp_neq_f64_e32 vcc_lo, 0, v[0:1]
	s_mov_b32 s6, -1
	v_cndmask_b32_e64 v2, 0, 1, vcc_lo
	global_store_byte v[15:16], v2, off
.LBB9_1835:
	s_mov_b32 s0, 0
	s_branch .LBB9_1882
.LBB9_1836:
	s_mov_b32 s0, 0
	s_mov_b32 s3, 0
                                        ; implicit-def: $vgpr0_vgpr1
                                        ; implicit-def: $sgpr6
                                        ; implicit-def: $vgpr12_vgpr13
.LBB9_1837:
	s_andn2_b32 s2, s12, exec_lo
	s_and_b32 s1, s1, exec_lo
	s_and_b32 s0, s0, exec_lo
	;; [unrolled: 1-line block ×3, first 2 shown]
	s_or_b32 s12, s2, s1
.LBB9_1838:
	s_or_b32 exec_lo, exec_lo, s13
	s_and_saveexec_b32 s1, s12
	s_cbranch_execz .LBB9_1841
; %bb.1839:
	; divergent unreachable
	s_or_b32 exec_lo, exec_lo, s1
	s_and_saveexec_b32 s1, s26
	s_xor_b32 s1, exec_lo, s1
	s_cbranch_execnz .LBB9_1842
.LBB9_1840:
	s_or_b32 exec_lo, exec_lo, s1
	s_and_saveexec_b32 s1, s0
	s_cbranch_execnz .LBB9_1843
	s_branch .LBB9_1880
.LBB9_1841:
	s_or_b32 exec_lo, exec_lo, s1
	s_and_saveexec_b32 s1, s26
	s_xor_b32 s1, exec_lo, s1
	s_cbranch_execz .LBB9_1840
.LBB9_1842:
	s_waitcnt vmcnt(0)
	v_cmp_neq_f64_e32 vcc_lo, 0, v[12:13]
	v_cndmask_b32_e64 v2, 0, 1, vcc_lo
	global_store_byte v[0:1], v2, off
	s_or_b32 exec_lo, exec_lo, s1
	s_and_saveexec_b32 s1, s0
	s_cbranch_execz .LBB9_1880
.LBB9_1843:
	s_sext_i32_i16 s1, s6
	s_mov_b32 s0, -1
	s_cmp_lt_i32 s1, 5
	s_cbranch_scc1 .LBB9_1864
; %bb.1844:
	s_cmp_lt_i32 s1, 8
	s_cbranch_scc1 .LBB9_1854
; %bb.1845:
	;; [unrolled: 3-line block ×3, first 2 shown]
	s_cmp_gt_i32 s1, 9
	s_cbranch_scc0 .LBB9_1848
; %bb.1847:
	v_mov_b32_e32 v14, 0
	s_mov_b32 s0, 0
	s_waitcnt vmcnt(0)
	v_mov_b32_e32 v15, v14
	global_store_dwordx4 v[0:1], v[12:15], off
.LBB9_1848:
	s_andn2_b32 vcc_lo, exec_lo, s0
	s_cbranch_vccnz .LBB9_1850
; %bb.1849:
	s_waitcnt vmcnt(0)
	v_cvt_f32_f64_e32 v2, v[12:13]
	v_mov_b32_e32 v3, 0
	global_store_dwordx2 v[0:1], v[2:3], off
.LBB9_1850:
	s_mov_b32 s0, 0
.LBB9_1851:
	s_andn2_b32 vcc_lo, exec_lo, s0
	s_cbranch_vccnz .LBB9_1853
; %bb.1852:
	s_waitcnt vmcnt(0)
	v_and_or_b32 v2, 0x1ff, v13, v12
	v_lshrrev_b32_e32 v3, 8, v13
	v_bfe_u32 v4, v13, 20, 11
	v_cmp_ne_u32_e32 vcc_lo, 0, v2
	v_sub_nc_u32_e32 v5, 0x3f1, v4
	v_add_nc_u32_e32 v4, 0xfffffc10, v4
	v_cndmask_b32_e64 v2, 0, 1, vcc_lo
	v_and_or_b32 v2, 0xffe, v3, v2
	v_med3_i32 v3, v5, 0, 13
	v_or_b32_e32 v5, 0x1000, v2
	v_lshrrev_b32_e32 v6, v3, v5
	v_lshlrev_b32_e32 v3, v3, v6
	v_cmp_ne_u32_e32 vcc_lo, v3, v5
	v_lshl_or_b32 v5, v4, 12, v2
	v_cndmask_b32_e64 v3, 0, 1, vcc_lo
	v_cmp_gt_i32_e32 vcc_lo, 1, v4
	v_or_b32_e32 v3, v6, v3
	v_cndmask_b32_e32 v3, v5, v3, vcc_lo
	v_and_b32_e32 v5, 7, v3
	v_lshrrev_b32_e32 v3, 2, v3
	v_cmp_lt_i32_e32 vcc_lo, 5, v5
	v_cndmask_b32_e64 v6, 0, 1, vcc_lo
	v_cmp_eq_u32_e32 vcc_lo, 3, v5
	v_cndmask_b32_e64 v5, 0, 1, vcc_lo
	v_cmp_ne_u32_e32 vcc_lo, 0, v2
	v_or_b32_e32 v5, v5, v6
	v_mov_b32_e32 v6, 0x7e00
	v_add_nc_u32_e32 v3, v3, v5
	v_cndmask_b32_e32 v2, 0x7c00, v6, vcc_lo
	v_cmp_gt_i32_e32 vcc_lo, 31, v4
	v_cndmask_b32_e32 v3, 0x7c00, v3, vcc_lo
	v_cmp_eq_u32_e32 vcc_lo, 0x40f, v4
	v_cndmask_b32_e32 v2, v3, v2, vcc_lo
	v_lshrrev_b32_e32 v3, 16, v13
	v_and_or_b32 v2, 0x8000, v3, v2
	v_and_b32_e32 v2, 0xffff, v2
	global_store_dword v[0:1], v2, off
.LBB9_1853:
	s_mov_b32 s0, 0
.LBB9_1854:
	s_andn2_b32 vcc_lo, exec_lo, s0
	s_cbranch_vccnz .LBB9_1863
; %bb.1855:
	s_sext_i32_i16 s1, s6
	s_mov_b32 s0, -1
	s_cmp_lt_i32 s1, 6
	s_cbranch_scc1 .LBB9_1861
; %bb.1856:
	s_cmp_gt_i32 s1, 6
	s_cbranch_scc0 .LBB9_1858
; %bb.1857:
	s_mov_b32 s0, 0
	s_waitcnt vmcnt(0)
	global_store_dwordx2 v[0:1], v[12:13], off
.LBB9_1858:
	s_andn2_b32 vcc_lo, exec_lo, s0
	s_cbranch_vccnz .LBB9_1860
; %bb.1859:
	s_waitcnt vmcnt(0)
	v_cvt_f32_f64_e32 v2, v[12:13]
	global_store_dword v[0:1], v2, off
.LBB9_1860:
	s_mov_b32 s0, 0
.LBB9_1861:
	s_andn2_b32 vcc_lo, exec_lo, s0
	s_cbranch_vccnz .LBB9_1863
; %bb.1862:
	s_waitcnt vmcnt(0)
	v_and_or_b32 v2, 0x1ff, v13, v12
	v_lshrrev_b32_e32 v3, 8, v13
	v_bfe_u32 v4, v13, 20, 11
	v_cmp_ne_u32_e32 vcc_lo, 0, v2
	v_sub_nc_u32_e32 v5, 0x3f1, v4
	v_add_nc_u32_e32 v4, 0xfffffc10, v4
	v_cndmask_b32_e64 v2, 0, 1, vcc_lo
	v_and_or_b32 v2, 0xffe, v3, v2
	v_med3_i32 v3, v5, 0, 13
	v_or_b32_e32 v5, 0x1000, v2
	v_lshrrev_b32_e32 v6, v3, v5
	v_lshlrev_b32_e32 v3, v3, v6
	v_cmp_ne_u32_e32 vcc_lo, v3, v5
	v_lshl_or_b32 v5, v4, 12, v2
	v_cndmask_b32_e64 v3, 0, 1, vcc_lo
	v_cmp_gt_i32_e32 vcc_lo, 1, v4
	v_or_b32_e32 v3, v6, v3
	v_cndmask_b32_e32 v3, v5, v3, vcc_lo
	v_and_b32_e32 v5, 7, v3
	v_lshrrev_b32_e32 v3, 2, v3
	v_cmp_lt_i32_e32 vcc_lo, 5, v5
	v_cndmask_b32_e64 v6, 0, 1, vcc_lo
	v_cmp_eq_u32_e32 vcc_lo, 3, v5
	v_cndmask_b32_e64 v5, 0, 1, vcc_lo
	v_cmp_ne_u32_e32 vcc_lo, 0, v2
	v_or_b32_e32 v5, v5, v6
	v_mov_b32_e32 v6, 0x7e00
	v_add_nc_u32_e32 v3, v3, v5
	v_cndmask_b32_e32 v2, 0x7c00, v6, vcc_lo
	v_cmp_gt_i32_e32 vcc_lo, 31, v4
	v_cndmask_b32_e32 v3, 0x7c00, v3, vcc_lo
	v_cmp_eq_u32_e32 vcc_lo, 0x40f, v4
	v_cndmask_b32_e32 v2, v3, v2, vcc_lo
	v_lshrrev_b32_e32 v3, 16, v13
	v_and_or_b32 v2, 0x8000, v3, v2
	global_store_short v[0:1], v2, off
.LBB9_1863:
	s_mov_b32 s0, 0
.LBB9_1864:
	s_andn2_b32 vcc_lo, exec_lo, s0
	s_cbranch_vccnz .LBB9_1880
; %bb.1865:
	s_sext_i32_i16 s1, s6
	s_mov_b32 s0, -1
	s_cmp_lt_i32 s1, 2
	s_cbranch_scc1 .LBB9_1875
; %bb.1866:
	s_cmp_lt_i32 s1, 3
	s_cbranch_scc1 .LBB9_1872
; %bb.1867:
	s_cmp_gt_i32 s1, 3
	s_cbranch_scc0 .LBB9_1869
; %bb.1868:
	s_waitcnt vmcnt(0)
	v_trunc_f64_e32 v[2:3], v[12:13]
	s_mov_b32 s0, 0
	v_ldexp_f64 v[4:5], v[2:3], 0xffffffe0
	v_floor_f64_e32 v[4:5], v[4:5]
	v_fma_f64 v[2:3], 0xc1f00000, v[4:5], v[2:3]
	v_cvt_i32_f64_e32 v4, v[4:5]
	v_cvt_u32_f64_e32 v3, v[2:3]
	global_store_dwordx2 v[0:1], v[3:4], off
.LBB9_1869:
	s_andn2_b32 vcc_lo, exec_lo, s0
	s_cbranch_vccnz .LBB9_1871
; %bb.1870:
	s_waitcnt vmcnt(0)
	v_cvt_i32_f64_e32 v2, v[12:13]
	global_store_dword v[0:1], v2, off
.LBB9_1871:
	s_mov_b32 s0, 0
.LBB9_1872:
	s_andn2_b32 vcc_lo, exec_lo, s0
	s_cbranch_vccnz .LBB9_1874
; %bb.1873:
	s_waitcnt vmcnt(0)
	v_cvt_i32_f64_e32 v2, v[12:13]
	global_store_short v[0:1], v2, off
.LBB9_1874:
	s_mov_b32 s0, 0
.LBB9_1875:
	s_andn2_b32 vcc_lo, exec_lo, s0
	s_cbranch_vccnz .LBB9_1880
; %bb.1876:
	s_sext_i32_i16 s0, s6
	s_cmp_gt_i32 s0, 0
	s_mov_b32 s0, -1
	s_cbranch_scc0 .LBB9_1878
; %bb.1877:
	s_waitcnt vmcnt(0)
	v_cvt_i32_f64_e32 v2, v[12:13]
	s_mov_b32 s0, 0
	global_store_byte v[0:1], v2, off
.LBB9_1878:
	s_andn2_b32 vcc_lo, exec_lo, s0
	s_cbranch_vccnz .LBB9_1880
; %bb.1879:
	s_waitcnt vmcnt(0)
	v_trunc_f64_e32 v[2:3], v[12:13]
	v_ldexp_f64 v[4:5], v[2:3], 0xffffffe0
	v_floor_f64_e32 v[4:5], v[4:5]
	v_fma_f64 v[2:3], 0xc1f00000, v[4:5], v[2:3]
	v_cvt_u32_f64_e32 v2, v[2:3]
	global_store_byte v[0:1], v2, off
	s_endpgm
.LBB9_1880:
	s_endpgm
.LBB9_1881:
	s_mov_b32 s0, -1
	s_mov_b32 s6, 0
.LBB9_1882:
	s_and_b32 vcc_lo, exec_lo, s0
	s_cbranch_vccz .LBB9_1921
; %bb.1883:
	s_and_b32 s0, 0xffff, s3
	s_mov_b32 s3, -1
	s_cmp_lt_i32 s0, 5
	s_cbranch_scc1 .LBB9_1904
; %bb.1884:
	s_cmp_lt_i32 s0, 8
	s_cbranch_scc1 .LBB9_1894
; %bb.1885:
	;; [unrolled: 3-line block ×3, first 2 shown]
	s_cmp_gt_i32 s0, 9
	s_cbranch_scc0 .LBB9_1888
; %bb.1887:
	v_mov_b32_e32 v2, 0
	s_mov_b32 s3, 0
	v_mov_b32_e32 v3, v2
	global_store_dwordx4 v[15:16], v[0:3], off
.LBB9_1888:
	s_andn2_b32 vcc_lo, exec_lo, s3
	s_cbranch_vccnz .LBB9_1890
; %bb.1889:
	v_cvt_f32_f64_e32 v2, v[0:1]
	v_mov_b32_e32 v3, 0
	global_store_dwordx2 v[15:16], v[2:3], off
.LBB9_1890:
	s_mov_b32 s3, 0
.LBB9_1891:
	s_andn2_b32 vcc_lo, exec_lo, s3
	s_cbranch_vccnz .LBB9_1893
; %bb.1892:
	v_and_or_b32 v2, 0x1ff, v1, v0
	v_lshrrev_b32_e32 v3, 8, v1
	v_bfe_u32 v7, v1, 20, 11
	v_cmp_ne_u32_e32 vcc_lo, 0, v2
	v_sub_nc_u32_e32 v11, 0x3f1, v7
	v_add_nc_u32_e32 v7, 0xfffffc10, v7
	v_cndmask_b32_e64 v2, 0, 1, vcc_lo
	v_and_or_b32 v2, 0xffe, v3, v2
	v_med3_i32 v3, v11, 0, 13
	v_or_b32_e32 v11, 0x1000, v2
	v_lshrrev_b32_e32 v17, v3, v11
	v_lshlrev_b32_e32 v3, v3, v17
	v_cmp_ne_u32_e32 vcc_lo, v3, v11
	v_lshl_or_b32 v11, v7, 12, v2
	v_cndmask_b32_e64 v3, 0, 1, vcc_lo
	v_cmp_gt_i32_e32 vcc_lo, 1, v7
	v_or_b32_e32 v3, v17, v3
	v_cndmask_b32_e32 v3, v11, v3, vcc_lo
	v_and_b32_e32 v11, 7, v3
	v_lshrrev_b32_e32 v3, 2, v3
	v_cmp_lt_i32_e32 vcc_lo, 5, v11
	v_cndmask_b32_e64 v17, 0, 1, vcc_lo
	v_cmp_eq_u32_e32 vcc_lo, 3, v11
	v_cndmask_b32_e64 v11, 0, 1, vcc_lo
	v_cmp_ne_u32_e32 vcc_lo, 0, v2
	v_or_b32_e32 v11, v11, v17
	v_mov_b32_e32 v17, 0x7e00
	v_add_nc_u32_e32 v3, v3, v11
	v_cndmask_b32_e32 v2, 0x7c00, v17, vcc_lo
	v_cmp_gt_i32_e32 vcc_lo, 31, v7
	v_cndmask_b32_e32 v3, 0x7c00, v3, vcc_lo
	v_cmp_eq_u32_e32 vcc_lo, 0x40f, v7
	v_cndmask_b32_e32 v2, v3, v2, vcc_lo
	v_lshrrev_b32_e32 v3, 16, v1
	v_and_or_b32 v2, 0x8000, v3, v2
	v_and_b32_e32 v2, 0xffff, v2
	global_store_dword v[15:16], v2, off
.LBB9_1893:
	s_mov_b32 s3, 0
.LBB9_1894:
	s_andn2_b32 vcc_lo, exec_lo, s3
	s_cbranch_vccnz .LBB9_1903
; %bb.1895:
	s_cmp_lt_i32 s0, 6
	s_mov_b32 s3, -1
	s_cbranch_scc1 .LBB9_1901
; %bb.1896:
	s_cmp_gt_i32 s0, 6
	s_cbranch_scc0 .LBB9_1898
; %bb.1897:
	s_mov_b32 s3, 0
	global_store_dwordx2 v[15:16], v[0:1], off
.LBB9_1898:
	s_andn2_b32 vcc_lo, exec_lo, s3
	s_cbranch_vccnz .LBB9_1900
; %bb.1899:
	v_cvt_f32_f64_e32 v2, v[0:1]
	global_store_dword v[15:16], v2, off
.LBB9_1900:
	s_mov_b32 s3, 0
.LBB9_1901:
	s_andn2_b32 vcc_lo, exec_lo, s3
	s_cbranch_vccnz .LBB9_1903
; %bb.1902:
	v_and_or_b32 v2, 0x1ff, v1, v0
	v_lshrrev_b32_e32 v3, 8, v1
	v_bfe_u32 v7, v1, 20, 11
	v_cmp_ne_u32_e32 vcc_lo, 0, v2
	v_sub_nc_u32_e32 v11, 0x3f1, v7
	v_add_nc_u32_e32 v7, 0xfffffc10, v7
	v_cndmask_b32_e64 v2, 0, 1, vcc_lo
	v_and_or_b32 v2, 0xffe, v3, v2
	v_med3_i32 v3, v11, 0, 13
	v_or_b32_e32 v11, 0x1000, v2
	v_lshrrev_b32_e32 v17, v3, v11
	v_lshlrev_b32_e32 v3, v3, v17
	v_cmp_ne_u32_e32 vcc_lo, v3, v11
	v_lshl_or_b32 v11, v7, 12, v2
	v_cndmask_b32_e64 v3, 0, 1, vcc_lo
	v_cmp_gt_i32_e32 vcc_lo, 1, v7
	v_or_b32_e32 v3, v17, v3
	v_cndmask_b32_e32 v3, v11, v3, vcc_lo
	v_and_b32_e32 v11, 7, v3
	v_lshrrev_b32_e32 v3, 2, v3
	v_cmp_lt_i32_e32 vcc_lo, 5, v11
	v_cndmask_b32_e64 v17, 0, 1, vcc_lo
	v_cmp_eq_u32_e32 vcc_lo, 3, v11
	v_cndmask_b32_e64 v11, 0, 1, vcc_lo
	v_cmp_ne_u32_e32 vcc_lo, 0, v2
	v_or_b32_e32 v11, v11, v17
	v_mov_b32_e32 v17, 0x7e00
	v_add_nc_u32_e32 v3, v3, v11
	v_cndmask_b32_e32 v2, 0x7c00, v17, vcc_lo
	v_cmp_gt_i32_e32 vcc_lo, 31, v7
	v_cndmask_b32_e32 v3, 0x7c00, v3, vcc_lo
	v_cmp_eq_u32_e32 vcc_lo, 0x40f, v7
	v_cndmask_b32_e32 v2, v3, v2, vcc_lo
	v_lshrrev_b32_e32 v3, 16, v1
	v_and_or_b32 v2, 0x8000, v3, v2
	global_store_short v[15:16], v2, off
.LBB9_1903:
	s_mov_b32 s3, 0
.LBB9_1904:
	s_andn2_b32 vcc_lo, exec_lo, s3
	s_cbranch_vccnz .LBB9_1920
; %bb.1905:
	s_cmp_lt_i32 s0, 2
	s_mov_b32 s3, -1
	s_cbranch_scc1 .LBB9_1915
; %bb.1906:
	s_cmp_lt_i32 s0, 3
	s_cbranch_scc1 .LBB9_1912
; %bb.1907:
	s_cmp_gt_i32 s0, 3
	s_cbranch_scc0 .LBB9_1909
; %bb.1908:
	v_trunc_f64_e32 v[2:3], v[0:1]
	s_mov_b32 s3, 0
	v_ldexp_f64 v[17:18], v[2:3], 0xffffffe0
	v_floor_f64_e32 v[17:18], v[17:18]
	v_fma_f64 v[2:3], 0xc1f00000, v[17:18], v[2:3]
	v_cvt_i32_f64_e32 v18, v[17:18]
	v_cvt_u32_f64_e32 v17, v[2:3]
	global_store_dwordx2 v[15:16], v[17:18], off
.LBB9_1909:
	s_andn2_b32 vcc_lo, exec_lo, s3
	s_cbranch_vccnz .LBB9_1911
; %bb.1910:
	v_cvt_i32_f64_e32 v2, v[0:1]
	global_store_dword v[15:16], v2, off
.LBB9_1911:
	s_mov_b32 s3, 0
.LBB9_1912:
	s_andn2_b32 vcc_lo, exec_lo, s3
	s_cbranch_vccnz .LBB9_1914
; %bb.1913:
	v_cvt_i32_f64_e32 v2, v[0:1]
	global_store_short v[15:16], v2, off
.LBB9_1914:
	s_mov_b32 s3, 0
.LBB9_1915:
	s_andn2_b32 vcc_lo, exec_lo, s3
	s_cbranch_vccnz .LBB9_1920
; %bb.1916:
	s_cmp_gt_i32 s0, 0
	s_mov_b32 s0, -1
	s_cbranch_scc0 .LBB9_1918
; %bb.1917:
	v_cvt_i32_f64_e32 v2, v[0:1]
	s_mov_b32 s0, 0
	global_store_byte v[15:16], v2, off
.LBB9_1918:
	s_andn2_b32 vcc_lo, exec_lo, s0
	s_cbranch_vccnz .LBB9_1920
; %bb.1919:
	v_trunc_f64_e32 v[0:1], v[0:1]
	v_ldexp_f64 v[2:3], v[0:1], 0xffffffe0
	v_floor_f64_e32 v[2:3], v[2:3]
	v_fma_f64 v[0:1], 0xc1f00000, v[2:3], v[0:1]
	v_cvt_u32_f64_e32 v0, v[0:1]
	global_store_byte v[15:16], v0, off
.LBB9_1920:
	s_mov_b32 s6, -1
.LBB9_1921:
	s_andn2_b32 vcc_lo, exec_lo, s6
	s_cbranch_vccnz .LBB9_2236
; %bb.1922:
	s_lshr_b32 s0, s2, 8
	s_and_b32 s6, s0, 0xff
	v_add_co_u32 v0, s0, s8, v6
	v_add_co_ci_u32_e64 v1, null, s9, 0, s0
	s_cmp_lt_i32 s6, 11
	s_cbranch_scc1 .LBB9_2000
; %bb.1923:
	s_and_b32 s2, 0xffff, s6
	s_mov_b32 s5, -1
	s_mov_b32 s3, 0
	s_cmp_gt_i32 s2, 25
	s_mov_b32 s4, 0
	s_mov_b32 s0, 0
	s_cbranch_scc0 .LBB9_1956
; %bb.1924:
	s_cmp_gt_i32 s2, 28
	s_cbranch_scc0 .LBB9_1939
; %bb.1925:
	s_cmp_gt_i32 s2, 43
	;; [unrolled: 3-line block ×3, first 2 shown]
	s_cbranch_scc0 .LBB9_1929
; %bb.1927:
	s_mov_b32 s0, -1
	s_mov_b32 s5, 0
	s_cmp_eq_u32 s2, 46
	s_cbranch_scc0 .LBB9_1929
; %bb.1928:
	v_cvt_f32_f64_e32 v2, v[4:5]
	s_mov_b32 s0, 0
	s_mov_b32 s4, -1
	v_bfe_u32 v3, v2, 16, 1
	v_cmp_o_f32_e32 vcc_lo, v2, v2
	v_add3_u32 v2, v2, v3, 0x7fff
	v_mov_b32_e32 v3, 0x7fc0
	v_cndmask_b32_sdwa v2, v3, v2, vcc_lo dst_sel:DWORD dst_unused:UNUSED_PAD src0_sel:DWORD src1_sel:WORD_1
	global_store_dword v[0:1], v2, off
.LBB9_1929:
	s_and_b32 vcc_lo, exec_lo, s5
	s_cbranch_vccz .LBB9_1934
; %bb.1930:
	s_cmp_eq_u32 s2, 44
	s_mov_b32 s0, -1
	s_cbranch_scc0 .LBB9_1934
; %bb.1931:
	v_cvt_f32_f64_e32 v2, v[4:5]
	v_mov_b32_e32 v3, 0xff
	s_mov_b32 s4, exec_lo
	v_bfe_u32 v6, v2, 23, 8
	v_cmpx_ne_u32_e32 0xff, v6
	s_cbranch_execz .LBB9_1933
; %bb.1932:
	v_and_b32_e32 v3, 0x400000, v2
	v_and_or_b32 v6, 0x3fffff, v2, v6
	v_lshrrev_b32_e32 v2, 23, v2
	v_cmp_ne_u32_e32 vcc_lo, 0, v3
	v_cmp_ne_u32_e64 s0, 0, v6
	s_and_b32 s0, vcc_lo, s0
	v_cndmask_b32_e64 v3, 0, 1, s0
	v_add_nc_u32_e32 v3, v2, v3
.LBB9_1933:
	s_or_b32 exec_lo, exec_lo, s4
	s_mov_b32 s0, 0
	s_mov_b32 s4, -1
	global_store_byte v[0:1], v3, off
.LBB9_1934:
	s_mov_b32 s5, 0
.LBB9_1935:
	s_and_b32 vcc_lo, exec_lo, s5
	s_cbranch_vccz .LBB9_1938
; %bb.1936:
	s_cmp_eq_u32 s2, 29
	s_mov_b32 s0, -1
	s_cbranch_scc0 .LBB9_1938
; %bb.1937:
	v_trunc_f64_e32 v[2:3], v[4:5]
	s_mov_b32 s0, 0
	s_mov_b32 s4, -1
	v_ldexp_f64 v[6:7], v[2:3], 0xffffffe0
	v_floor_f64_e32 v[6:7], v[6:7]
	v_fma_f64 v[2:3], 0xc1f00000, v[6:7], v[2:3]
	v_cvt_u32_f64_e32 v7, v[6:7]
	v_cvt_u32_f64_e32 v6, v[2:3]
	global_store_dwordx2 v[0:1], v[6:7], off
.LBB9_1938:
	s_mov_b32 s5, 0
.LBB9_1939:
	s_and_b32 vcc_lo, exec_lo, s5
	s_cbranch_vccz .LBB9_1955
; %bb.1940:
	s_cmp_lt_i32 s2, 27
	s_mov_b32 s4, -1
	s_cbranch_scc1 .LBB9_1946
; %bb.1941:
	s_cmp_gt_i32 s2, 27
	s_cbranch_scc0 .LBB9_1943
; %bb.1942:
	v_cvt_u32_f64_e32 v2, v[4:5]
	s_mov_b32 s4, 0
	global_store_dword v[0:1], v2, off
.LBB9_1943:
	s_andn2_b32 vcc_lo, exec_lo, s4
	s_cbranch_vccnz .LBB9_1945
; %bb.1944:
	v_cvt_u32_f64_e32 v2, v[4:5]
	global_store_short v[0:1], v2, off
.LBB9_1945:
	s_mov_b32 s4, 0
.LBB9_1946:
	s_andn2_b32 vcc_lo, exec_lo, s4
	s_cbranch_vccnz .LBB9_1954
; %bb.1947:
	v_cvt_f32_f64_e32 v2, v[4:5]
	v_mov_b32_e32 v6, 0x80
	s_mov_b32 s4, exec_lo
	v_and_b32_e32 v3, 0x7fffffff, v2
	v_cmpx_gt_u32_e32 0x43800000, v3
	s_cbranch_execz .LBB9_1953
; %bb.1948:
	v_cmp_lt_u32_e32 vcc_lo, 0x3bffffff, v3
	s_mov_b32 s5, 0
                                        ; implicit-def: $vgpr3
	s_and_saveexec_b32 s7, vcc_lo
	s_xor_b32 s7, exec_lo, s7
	s_cbranch_execz .LBB9_2244
; %bb.1949:
	v_bfe_u32 v3, v2, 20, 1
	s_mov_b32 s5, exec_lo
	v_add3_u32 v3, v2, v3, 0x487ffff
	v_lshrrev_b32_e32 v3, 20, v3
	s_andn2_saveexec_b32 s7, s7
	s_cbranch_execnz .LBB9_2245
.LBB9_1950:
	s_or_b32 exec_lo, exec_lo, s7
	v_mov_b32_e32 v6, 0
	s_and_saveexec_b32 s7, s5
.LBB9_1951:
	v_lshrrev_b32_e32 v2, 24, v2
	v_and_or_b32 v6, 0x80, v2, v3
.LBB9_1952:
	s_or_b32 exec_lo, exec_lo, s7
.LBB9_1953:
	s_or_b32 exec_lo, exec_lo, s4
	global_store_byte v[0:1], v6, off
.LBB9_1954:
	s_mov_b32 s4, -1
.LBB9_1955:
	s_mov_b32 s5, 0
.LBB9_1956:
	s_and_b32 vcc_lo, exec_lo, s5
	s_cbranch_vccz .LBB9_1996
; %bb.1957:
	s_cmp_gt_i32 s2, 22
	s_mov_b32 s3, -1
	s_cbranch_scc0 .LBB9_1989
; %bb.1958:
	s_cmp_lt_i32 s2, 24
	s_cbranch_scc1 .LBB9_1978
; %bb.1959:
	s_cmp_gt_i32 s2, 24
	s_cbranch_scc0 .LBB9_1967
; %bb.1960:
	v_cvt_f32_f64_e32 v2, v[4:5]
	v_mov_b32_e32 v6, 0x80
	s_mov_b32 s3, exec_lo
	v_and_b32_e32 v3, 0x7fffffff, v2
	v_cmpx_gt_u32_e32 0x47800000, v3
	s_cbranch_execz .LBB9_1966
; %bb.1961:
	v_cmp_lt_u32_e32 vcc_lo, 0x37ffffff, v3
	s_mov_b32 s4, 0
                                        ; implicit-def: $vgpr3
	s_and_saveexec_b32 s5, vcc_lo
	s_xor_b32 s5, exec_lo, s5
	s_cbranch_execz .LBB9_2247
; %bb.1962:
	v_bfe_u32 v3, v2, 21, 1
	s_mov_b32 s4, exec_lo
	v_add3_u32 v3, v2, v3, 0x88fffff
	v_lshrrev_b32_e32 v3, 21, v3
	s_andn2_saveexec_b32 s5, s5
	s_cbranch_execnz .LBB9_2248
.LBB9_1963:
	s_or_b32 exec_lo, exec_lo, s5
	v_mov_b32_e32 v6, 0
	s_and_saveexec_b32 s5, s4
.LBB9_1964:
	v_lshrrev_b32_e32 v2, 24, v2
	v_and_or_b32 v6, 0x80, v2, v3
.LBB9_1965:
	s_or_b32 exec_lo, exec_lo, s5
.LBB9_1966:
	s_or_b32 exec_lo, exec_lo, s3
	s_mov_b32 s3, 0
	global_store_byte v[0:1], v6, off
.LBB9_1967:
	s_and_b32 vcc_lo, exec_lo, s3
	s_cbranch_vccz .LBB9_1977
; %bb.1968:
	v_cvt_f32_f64_e32 v2, v[4:5]
	s_mov_b32 s3, exec_lo
                                        ; implicit-def: $vgpr3
	v_and_b32_e32 v6, 0x7fffffff, v2
	v_cmpx_gt_u32_e32 0x43f00000, v6
	s_xor_b32 s3, exec_lo, s3
	s_cbranch_execz .LBB9_1974
; %bb.1969:
	s_mov_b32 s4, exec_lo
                                        ; implicit-def: $vgpr3
	v_cmpx_lt_u32_e32 0x3c7fffff, v6
	s_xor_b32 s4, exec_lo, s4
; %bb.1970:
	v_bfe_u32 v3, v2, 20, 1
	v_add3_u32 v3, v2, v3, 0x407ffff
	v_and_b32_e32 v6, 0xff00000, v3
	v_lshrrev_b32_e32 v3, 20, v3
	v_cmp_ne_u32_e32 vcc_lo, 0x7f00000, v6
	v_cndmask_b32_e32 v3, 0x7e, v3, vcc_lo
; %bb.1971:
	s_andn2_saveexec_b32 s4, s4
; %bb.1972:
	v_add_f32_e64 v3, 0x46800000, |v2|
; %bb.1973:
	s_or_b32 exec_lo, exec_lo, s4
                                        ; implicit-def: $vgpr6
.LBB9_1974:
	s_andn2_saveexec_b32 s3, s3
; %bb.1975:
	v_mov_b32_e32 v3, 0x7f
	v_cmp_lt_u32_e32 vcc_lo, 0x7f800000, v6
	v_cndmask_b32_e32 v3, 0x7e, v3, vcc_lo
; %bb.1976:
	s_or_b32 exec_lo, exec_lo, s3
	v_lshrrev_b32_e32 v2, 24, v2
	v_and_or_b32 v2, 0x80, v2, v3
	global_store_byte v[0:1], v2, off
.LBB9_1977:
	s_mov_b32 s3, 0
.LBB9_1978:
	s_andn2_b32 vcc_lo, exec_lo, s3
	s_cbranch_vccnz .LBB9_1988
; %bb.1979:
	v_cvt_f32_f64_e32 v2, v[4:5]
	s_mov_b32 s3, exec_lo
                                        ; implicit-def: $vgpr3
	v_and_b32_e32 v6, 0x7fffffff, v2
	v_cmpx_gt_u32_e32 0x47800000, v6
	s_xor_b32 s3, exec_lo, s3
	s_cbranch_execz .LBB9_1985
; %bb.1980:
	s_mov_b32 s4, exec_lo
                                        ; implicit-def: $vgpr3
	v_cmpx_lt_u32_e32 0x387fffff, v6
	s_xor_b32 s4, exec_lo, s4
; %bb.1981:
	v_bfe_u32 v3, v2, 21, 1
	v_add3_u32 v3, v2, v3, 0x80fffff
	v_lshrrev_b32_e32 v3, 21, v3
; %bb.1982:
	s_andn2_saveexec_b32 s4, s4
; %bb.1983:
	v_add_f32_e64 v3, 0x43000000, |v2|
; %bb.1984:
	s_or_b32 exec_lo, exec_lo, s4
                                        ; implicit-def: $vgpr6
.LBB9_1985:
	s_andn2_saveexec_b32 s3, s3
; %bb.1986:
	v_mov_b32_e32 v3, 0x7f
	v_cmp_lt_u32_e32 vcc_lo, 0x7f800000, v6
	v_cndmask_b32_e32 v3, 0x7c, v3, vcc_lo
; %bb.1987:
	s_or_b32 exec_lo, exec_lo, s3
	v_lshrrev_b32_e32 v2, 24, v2
	v_and_or_b32 v2, 0x80, v2, v3
	global_store_byte v[0:1], v2, off
.LBB9_1988:
	s_mov_b32 s3, 0
	s_mov_b32 s4, -1
.LBB9_1989:
	s_andn2_b32 vcc_lo, exec_lo, s3
	s_mov_b32 s3, 0
	s_cbranch_vccnz .LBB9_1996
; %bb.1990:
	s_cmp_gt_i32 s2, 14
	s_mov_b32 s3, -1
	s_cbranch_scc0 .LBB9_1994
; %bb.1991:
	s_cmp_eq_u32 s2, 15
	s_mov_b32 s0, -1
	s_cbranch_scc0 .LBB9_1993
; %bb.1992:
	v_cvt_f32_f64_e32 v2, v[4:5]
	s_mov_b32 s0, 0
	s_mov_b32 s4, -1
	v_bfe_u32 v3, v2, 16, 1
	v_cmp_o_f32_e32 vcc_lo, v2, v2
	v_add3_u32 v2, v2, v3, 0x7fff
	v_mov_b32_e32 v3, 0x7fc0
	v_cndmask_b32_sdwa v2, v3, v2, vcc_lo dst_sel:DWORD dst_unused:UNUSED_PAD src0_sel:DWORD src1_sel:WORD_1
	global_store_short v[0:1], v2, off
.LBB9_1993:
	s_mov_b32 s3, 0
.LBB9_1994:
	s_and_b32 vcc_lo, exec_lo, s3
	s_mov_b32 s3, 0
	s_cbranch_vccz .LBB9_1996
; %bb.1995:
	s_cmp_lg_u32 s2, 11
	s_mov_b32 s3, -1
	s_cselect_b32 s0, -1, 0
.LBB9_1996:
	s_and_b32 vcc_lo, exec_lo, s0
	s_cbranch_vccnz .LBB9_2246
; %bb.1997:
	s_andn2_b32 vcc_lo, exec_lo, s3
	s_cbranch_vccnz .LBB9_1999
.LBB9_1998:
	v_cmp_neq_f64_e32 vcc_lo, 0, v[4:5]
	s_mov_b32 s4, -1
	v_cndmask_b32_e64 v2, 0, 1, vcc_lo
	global_store_byte v[0:1], v2, off
.LBB9_1999:
	s_mov_b32 s0, 0
	s_branch .LBB9_2001
.LBB9_2000:
	s_mov_b32 s0, -1
	s_mov_b32 s4, 0
.LBB9_2001:
	s_and_b32 vcc_lo, exec_lo, s0
	s_cbranch_vccz .LBB9_2040
; %bb.2002:
	s_and_b32 s0, 0xffff, s6
	s_mov_b32 s2, -1
	s_cmp_lt_i32 s0, 5
	s_cbranch_scc1 .LBB9_2023
; %bb.2003:
	s_cmp_lt_i32 s0, 8
	s_cbranch_scc1 .LBB9_2013
; %bb.2004:
	;; [unrolled: 3-line block ×3, first 2 shown]
	s_cmp_gt_i32 s0, 9
	s_cbranch_scc0 .LBB9_2007
; %bb.2006:
	v_mov_b32_e32 v6, 0
	s_mov_b32 s2, 0
	v_mov_b32_e32 v7, v6
	global_store_dwordx4 v[0:1], v[4:7], off
.LBB9_2007:
	s_andn2_b32 vcc_lo, exec_lo, s2
	s_cbranch_vccnz .LBB9_2009
; %bb.2008:
	v_cvt_f32_f64_e32 v2, v[4:5]
	v_mov_b32_e32 v3, 0
	global_store_dwordx2 v[0:1], v[2:3], off
.LBB9_2009:
	s_mov_b32 s2, 0
.LBB9_2010:
	s_andn2_b32 vcc_lo, exec_lo, s2
	s_cbranch_vccnz .LBB9_2012
; %bb.2011:
	v_and_or_b32 v2, 0x1ff, v5, v4
	v_lshrrev_b32_e32 v3, 8, v5
	v_bfe_u32 v6, v5, 20, 11
	v_cmp_ne_u32_e32 vcc_lo, 0, v2
	v_sub_nc_u32_e32 v7, 0x3f1, v6
	v_add_nc_u32_e32 v6, 0xfffffc10, v6
	v_cndmask_b32_e64 v2, 0, 1, vcc_lo
	v_and_or_b32 v2, 0xffe, v3, v2
	v_med3_i32 v3, v7, 0, 13
	v_or_b32_e32 v7, 0x1000, v2
	v_lshrrev_b32_e32 v11, v3, v7
	v_lshlrev_b32_e32 v3, v3, v11
	v_cmp_ne_u32_e32 vcc_lo, v3, v7
	v_lshl_or_b32 v7, v6, 12, v2
	v_cndmask_b32_e64 v3, 0, 1, vcc_lo
	v_cmp_gt_i32_e32 vcc_lo, 1, v6
	v_or_b32_e32 v3, v11, v3
	v_cndmask_b32_e32 v3, v7, v3, vcc_lo
	v_and_b32_e32 v7, 7, v3
	v_lshrrev_b32_e32 v3, 2, v3
	v_cmp_lt_i32_e32 vcc_lo, 5, v7
	v_cndmask_b32_e64 v11, 0, 1, vcc_lo
	v_cmp_eq_u32_e32 vcc_lo, 3, v7
	v_cndmask_b32_e64 v7, 0, 1, vcc_lo
	v_cmp_ne_u32_e32 vcc_lo, 0, v2
	v_or_b32_e32 v7, v7, v11
	v_mov_b32_e32 v11, 0x7e00
	v_add_nc_u32_e32 v3, v3, v7
	v_cndmask_b32_e32 v2, 0x7c00, v11, vcc_lo
	v_cmp_gt_i32_e32 vcc_lo, 31, v6
	v_cndmask_b32_e32 v3, 0x7c00, v3, vcc_lo
	v_cmp_eq_u32_e32 vcc_lo, 0x40f, v6
	v_cndmask_b32_e32 v2, v3, v2, vcc_lo
	v_lshrrev_b32_e32 v3, 16, v5
	v_and_or_b32 v2, 0x8000, v3, v2
	v_and_b32_e32 v2, 0xffff, v2
	global_store_dword v[0:1], v2, off
.LBB9_2012:
	s_mov_b32 s2, 0
.LBB9_2013:
	s_andn2_b32 vcc_lo, exec_lo, s2
	s_cbranch_vccnz .LBB9_2022
; %bb.2014:
	s_cmp_lt_i32 s0, 6
	s_mov_b32 s2, -1
	s_cbranch_scc1 .LBB9_2020
; %bb.2015:
	s_cmp_gt_i32 s0, 6
	s_cbranch_scc0 .LBB9_2017
; %bb.2016:
	s_mov_b32 s2, 0
	global_store_dwordx2 v[0:1], v[4:5], off
.LBB9_2017:
	s_andn2_b32 vcc_lo, exec_lo, s2
	s_cbranch_vccnz .LBB9_2019
; %bb.2018:
	v_cvt_f32_f64_e32 v2, v[4:5]
	global_store_dword v[0:1], v2, off
.LBB9_2019:
	s_mov_b32 s2, 0
.LBB9_2020:
	s_andn2_b32 vcc_lo, exec_lo, s2
	s_cbranch_vccnz .LBB9_2022
; %bb.2021:
	v_and_or_b32 v2, 0x1ff, v5, v4
	v_lshrrev_b32_e32 v3, 8, v5
	v_bfe_u32 v6, v5, 20, 11
	v_cmp_ne_u32_e32 vcc_lo, 0, v2
	v_sub_nc_u32_e32 v7, 0x3f1, v6
	v_add_nc_u32_e32 v6, 0xfffffc10, v6
	v_cndmask_b32_e64 v2, 0, 1, vcc_lo
	v_and_or_b32 v2, 0xffe, v3, v2
	v_med3_i32 v3, v7, 0, 13
	v_or_b32_e32 v7, 0x1000, v2
	v_lshrrev_b32_e32 v11, v3, v7
	v_lshlrev_b32_e32 v3, v3, v11
	v_cmp_ne_u32_e32 vcc_lo, v3, v7
	v_lshl_or_b32 v7, v6, 12, v2
	v_cndmask_b32_e64 v3, 0, 1, vcc_lo
	v_cmp_gt_i32_e32 vcc_lo, 1, v6
	v_or_b32_e32 v3, v11, v3
	v_cndmask_b32_e32 v3, v7, v3, vcc_lo
	v_and_b32_e32 v7, 7, v3
	v_lshrrev_b32_e32 v3, 2, v3
	v_cmp_lt_i32_e32 vcc_lo, 5, v7
	v_cndmask_b32_e64 v11, 0, 1, vcc_lo
	v_cmp_eq_u32_e32 vcc_lo, 3, v7
	v_cndmask_b32_e64 v7, 0, 1, vcc_lo
	v_cmp_ne_u32_e32 vcc_lo, 0, v2
	v_or_b32_e32 v7, v7, v11
	v_mov_b32_e32 v11, 0x7e00
	v_add_nc_u32_e32 v3, v3, v7
	v_cndmask_b32_e32 v2, 0x7c00, v11, vcc_lo
	v_cmp_gt_i32_e32 vcc_lo, 31, v6
	v_cndmask_b32_e32 v3, 0x7c00, v3, vcc_lo
	v_cmp_eq_u32_e32 vcc_lo, 0x40f, v6
	v_cndmask_b32_e32 v2, v3, v2, vcc_lo
	v_lshrrev_b32_e32 v3, 16, v5
	v_and_or_b32 v2, 0x8000, v3, v2
	global_store_short v[0:1], v2, off
.LBB9_2022:
	s_mov_b32 s2, 0
.LBB9_2023:
	s_andn2_b32 vcc_lo, exec_lo, s2
	s_cbranch_vccnz .LBB9_2039
; %bb.2024:
	s_cmp_lt_i32 s0, 2
	s_mov_b32 s2, -1
	s_cbranch_scc1 .LBB9_2034
; %bb.2025:
	s_cmp_lt_i32 s0, 3
	s_cbranch_scc1 .LBB9_2031
; %bb.2026:
	s_cmp_gt_i32 s0, 3
	s_cbranch_scc0 .LBB9_2028
; %bb.2027:
	v_trunc_f64_e32 v[2:3], v[4:5]
	s_mov_b32 s2, 0
	v_ldexp_f64 v[6:7], v[2:3], 0xffffffe0
	v_floor_f64_e32 v[6:7], v[6:7]
	v_fma_f64 v[2:3], 0xc1f00000, v[6:7], v[2:3]
	v_cvt_i32_f64_e32 v7, v[6:7]
	v_cvt_u32_f64_e32 v6, v[2:3]
	global_store_dwordx2 v[0:1], v[6:7], off
.LBB9_2028:
	s_andn2_b32 vcc_lo, exec_lo, s2
	s_cbranch_vccnz .LBB9_2030
; %bb.2029:
	v_cvt_i32_f64_e32 v2, v[4:5]
	global_store_dword v[0:1], v2, off
.LBB9_2030:
	s_mov_b32 s2, 0
.LBB9_2031:
	s_andn2_b32 vcc_lo, exec_lo, s2
	s_cbranch_vccnz .LBB9_2033
; %bb.2032:
	v_cvt_i32_f64_e32 v2, v[4:5]
	global_store_short v[0:1], v2, off
.LBB9_2033:
	s_mov_b32 s2, 0
.LBB9_2034:
	s_andn2_b32 vcc_lo, exec_lo, s2
	s_cbranch_vccnz .LBB9_2039
; %bb.2035:
	s_cmp_gt_i32 s0, 0
	s_mov_b32 s0, -1
	s_cbranch_scc0 .LBB9_2037
; %bb.2036:
	v_cvt_i32_f64_e32 v2, v[4:5]
	s_mov_b32 s0, 0
	global_store_byte v[0:1], v2, off
.LBB9_2037:
	s_andn2_b32 vcc_lo, exec_lo, s0
	s_cbranch_vccnz .LBB9_2039
; %bb.2038:
	v_trunc_f64_e32 v[2:3], v[4:5]
	v_ldexp_f64 v[4:5], v[2:3], 0xffffffe0
	v_floor_f64_e32 v[4:5], v[4:5]
	v_fma_f64 v[2:3], 0xc1f00000, v[4:5], v[2:3]
	v_cvt_u32_f64_e32 v2, v[2:3]
	global_store_byte v[0:1], v2, off
.LBB9_2039:
	s_mov_b32 s4, -1
.LBB9_2040:
	s_andn2_b32 vcc_lo, exec_lo, s4
	s_cbranch_vccnz .LBB9_2236
; %bb.2041:
	v_add_co_u32 v0, s0, s8, v10
	v_add_co_ci_u32_e64 v1, null, s9, 0, s0
	s_cmp_lt_i32 s6, 11
	s_cbranch_scc1 .LBB9_2119
; %bb.2042:
	s_and_b32 s2, 0xffff, s6
	s_mov_b32 s5, -1
	s_mov_b32 s3, 0
	s_cmp_gt_i32 s2, 25
	s_mov_b32 s4, 0
	s_mov_b32 s0, 0
	s_cbranch_scc0 .LBB9_2075
; %bb.2043:
	s_cmp_gt_i32 s2, 28
	s_cbranch_scc0 .LBB9_2058
; %bb.2044:
	s_cmp_gt_i32 s2, 43
	;; [unrolled: 3-line block ×3, first 2 shown]
	s_cbranch_scc0 .LBB9_2048
; %bb.2046:
	s_mov_b32 s0, -1
	s_mov_b32 s5, 0
	s_cmp_eq_u32 s2, 46
	s_cbranch_scc0 .LBB9_2048
; %bb.2047:
	v_cvt_f32_f64_e32 v2, v[8:9]
	s_mov_b32 s0, 0
	s_mov_b32 s4, -1
	v_bfe_u32 v3, v2, 16, 1
	v_cmp_o_f32_e32 vcc_lo, v2, v2
	v_add3_u32 v2, v2, v3, 0x7fff
	v_mov_b32_e32 v3, 0x7fc0
	v_cndmask_b32_sdwa v2, v3, v2, vcc_lo dst_sel:DWORD dst_unused:UNUSED_PAD src0_sel:DWORD src1_sel:WORD_1
	global_store_dword v[0:1], v2, off
.LBB9_2048:
	s_and_b32 vcc_lo, exec_lo, s5
	s_cbranch_vccz .LBB9_2053
; %bb.2049:
	s_cmp_eq_u32 s2, 44
	s_mov_b32 s0, -1
	s_cbranch_scc0 .LBB9_2053
; %bb.2050:
	v_cvt_f32_f64_e32 v2, v[8:9]
	v_mov_b32_e32 v3, 0xff
	s_mov_b32 s4, exec_lo
	v_bfe_u32 v4, v2, 23, 8
	v_cmpx_ne_u32_e32 0xff, v4
	s_cbranch_execz .LBB9_2052
; %bb.2051:
	v_and_b32_e32 v3, 0x400000, v2
	v_and_or_b32 v4, 0x3fffff, v2, v4
	v_lshrrev_b32_e32 v2, 23, v2
	v_cmp_ne_u32_e32 vcc_lo, 0, v3
	v_cmp_ne_u32_e64 s0, 0, v4
	s_and_b32 s0, vcc_lo, s0
	v_cndmask_b32_e64 v3, 0, 1, s0
	v_add_nc_u32_e32 v3, v2, v3
.LBB9_2052:
	s_or_b32 exec_lo, exec_lo, s4
	s_mov_b32 s0, 0
	s_mov_b32 s4, -1
	global_store_byte v[0:1], v3, off
.LBB9_2053:
	s_mov_b32 s5, 0
.LBB9_2054:
	s_and_b32 vcc_lo, exec_lo, s5
	s_cbranch_vccz .LBB9_2057
; %bb.2055:
	s_cmp_eq_u32 s2, 29
	s_mov_b32 s0, -1
	s_cbranch_scc0 .LBB9_2057
; %bb.2056:
	v_trunc_f64_e32 v[2:3], v[8:9]
	s_mov_b32 s0, 0
	s_mov_b32 s4, -1
	v_ldexp_f64 v[4:5], v[2:3], 0xffffffe0
	v_floor_f64_e32 v[4:5], v[4:5]
	v_fma_f64 v[2:3], 0xc1f00000, v[4:5], v[2:3]
	v_cvt_u32_f64_e32 v4, v[4:5]
	v_cvt_u32_f64_e32 v3, v[2:3]
	global_store_dwordx2 v[0:1], v[3:4], off
.LBB9_2057:
	s_mov_b32 s5, 0
.LBB9_2058:
	s_and_b32 vcc_lo, exec_lo, s5
	s_cbranch_vccz .LBB9_2074
; %bb.2059:
	s_cmp_lt_i32 s2, 27
	s_mov_b32 s4, -1
	s_cbranch_scc1 .LBB9_2065
; %bb.2060:
	v_cvt_u32_f64_e32 v2, v[8:9]
	s_cmp_gt_i32 s2, 27
	s_cbranch_scc0 .LBB9_2062
; %bb.2061:
	s_mov_b32 s4, 0
	global_store_dword v[0:1], v2, off
.LBB9_2062:
	s_andn2_b32 vcc_lo, exec_lo, s4
	s_cbranch_vccnz .LBB9_2064
; %bb.2063:
	global_store_short v[0:1], v2, off
.LBB9_2064:
	s_mov_b32 s4, 0
.LBB9_2065:
	s_andn2_b32 vcc_lo, exec_lo, s4
	s_cbranch_vccnz .LBB9_2073
; %bb.2066:
	v_cvt_f32_f64_e32 v2, v[8:9]
	v_mov_b32_e32 v4, 0x80
	s_mov_b32 s4, exec_lo
	v_and_b32_e32 v3, 0x7fffffff, v2
	v_cmpx_gt_u32_e32 0x43800000, v3
	s_cbranch_execz .LBB9_2072
; %bb.2067:
	v_cmp_lt_u32_e32 vcc_lo, 0x3bffffff, v3
	s_mov_b32 s5, 0
                                        ; implicit-def: $vgpr3
	s_and_saveexec_b32 s7, vcc_lo
	s_xor_b32 s7, exec_lo, s7
	s_cbranch_execz .LBB9_2249
; %bb.2068:
	v_bfe_u32 v3, v2, 20, 1
	s_mov_b32 s5, exec_lo
	v_add3_u32 v3, v2, v3, 0x487ffff
	v_lshrrev_b32_e32 v3, 20, v3
	s_andn2_saveexec_b32 s7, s7
	s_cbranch_execnz .LBB9_2250
.LBB9_2069:
	s_or_b32 exec_lo, exec_lo, s7
	v_mov_b32_e32 v4, 0
	s_and_saveexec_b32 s7, s5
.LBB9_2070:
	v_lshrrev_b32_e32 v2, 24, v2
	v_and_or_b32 v4, 0x80, v2, v3
.LBB9_2071:
	s_or_b32 exec_lo, exec_lo, s7
.LBB9_2072:
	s_or_b32 exec_lo, exec_lo, s4
	global_store_byte v[0:1], v4, off
.LBB9_2073:
	s_mov_b32 s4, -1
.LBB9_2074:
	s_mov_b32 s5, 0
.LBB9_2075:
	s_and_b32 vcc_lo, exec_lo, s5
	s_cbranch_vccz .LBB9_2115
; %bb.2076:
	s_cmp_gt_i32 s2, 22
	s_mov_b32 s3, -1
	s_cbranch_scc0 .LBB9_2108
; %bb.2077:
	s_cmp_lt_i32 s2, 24
	s_cbranch_scc1 .LBB9_2097
; %bb.2078:
	s_cmp_gt_i32 s2, 24
	s_cbranch_scc0 .LBB9_2086
; %bb.2079:
	v_cvt_f32_f64_e32 v2, v[8:9]
	v_mov_b32_e32 v4, 0x80
	s_mov_b32 s3, exec_lo
	v_and_b32_e32 v3, 0x7fffffff, v2
	v_cmpx_gt_u32_e32 0x47800000, v3
	s_cbranch_execz .LBB9_2085
; %bb.2080:
	v_cmp_lt_u32_e32 vcc_lo, 0x37ffffff, v3
	s_mov_b32 s4, 0
                                        ; implicit-def: $vgpr3
	s_and_saveexec_b32 s5, vcc_lo
	s_xor_b32 s5, exec_lo, s5
	s_cbranch_execz .LBB9_2252
; %bb.2081:
	v_bfe_u32 v3, v2, 21, 1
	s_mov_b32 s4, exec_lo
	v_add3_u32 v3, v2, v3, 0x88fffff
	v_lshrrev_b32_e32 v3, 21, v3
	s_andn2_saveexec_b32 s5, s5
	s_cbranch_execnz .LBB9_2253
.LBB9_2082:
	s_or_b32 exec_lo, exec_lo, s5
	v_mov_b32_e32 v4, 0
	s_and_saveexec_b32 s5, s4
.LBB9_2083:
	v_lshrrev_b32_e32 v2, 24, v2
	v_and_or_b32 v4, 0x80, v2, v3
.LBB9_2084:
	s_or_b32 exec_lo, exec_lo, s5
.LBB9_2085:
	s_or_b32 exec_lo, exec_lo, s3
	s_mov_b32 s3, 0
	global_store_byte v[0:1], v4, off
.LBB9_2086:
	s_and_b32 vcc_lo, exec_lo, s3
	s_cbranch_vccz .LBB9_2096
; %bb.2087:
	v_cvt_f32_f64_e32 v2, v[8:9]
	s_mov_b32 s3, exec_lo
                                        ; implicit-def: $vgpr3
	v_and_b32_e32 v4, 0x7fffffff, v2
	v_cmpx_gt_u32_e32 0x43f00000, v4
	s_xor_b32 s3, exec_lo, s3
	s_cbranch_execz .LBB9_2093
; %bb.2088:
	s_mov_b32 s4, exec_lo
                                        ; implicit-def: $vgpr3
	v_cmpx_lt_u32_e32 0x3c7fffff, v4
	s_xor_b32 s4, exec_lo, s4
; %bb.2089:
	v_bfe_u32 v3, v2, 20, 1
	v_add3_u32 v3, v2, v3, 0x407ffff
	v_and_b32_e32 v4, 0xff00000, v3
	v_lshrrev_b32_e32 v3, 20, v3
	v_cmp_ne_u32_e32 vcc_lo, 0x7f00000, v4
	v_cndmask_b32_e32 v3, 0x7e, v3, vcc_lo
; %bb.2090:
	s_andn2_saveexec_b32 s4, s4
; %bb.2091:
	v_add_f32_e64 v3, 0x46800000, |v2|
; %bb.2092:
	s_or_b32 exec_lo, exec_lo, s4
                                        ; implicit-def: $vgpr4
.LBB9_2093:
	s_andn2_saveexec_b32 s3, s3
; %bb.2094:
	v_mov_b32_e32 v3, 0x7f
	v_cmp_lt_u32_e32 vcc_lo, 0x7f800000, v4
	v_cndmask_b32_e32 v3, 0x7e, v3, vcc_lo
; %bb.2095:
	s_or_b32 exec_lo, exec_lo, s3
	v_lshrrev_b32_e32 v2, 24, v2
	v_and_or_b32 v2, 0x80, v2, v3
	global_store_byte v[0:1], v2, off
.LBB9_2096:
	s_mov_b32 s3, 0
.LBB9_2097:
	s_andn2_b32 vcc_lo, exec_lo, s3
	s_cbranch_vccnz .LBB9_2107
; %bb.2098:
	v_cvt_f32_f64_e32 v2, v[8:9]
	s_mov_b32 s3, exec_lo
                                        ; implicit-def: $vgpr3
	v_and_b32_e32 v4, 0x7fffffff, v2
	v_cmpx_gt_u32_e32 0x47800000, v4
	s_xor_b32 s3, exec_lo, s3
	s_cbranch_execz .LBB9_2104
; %bb.2099:
	s_mov_b32 s4, exec_lo
                                        ; implicit-def: $vgpr3
	v_cmpx_lt_u32_e32 0x387fffff, v4
	s_xor_b32 s4, exec_lo, s4
; %bb.2100:
	v_bfe_u32 v3, v2, 21, 1
	v_add3_u32 v3, v2, v3, 0x80fffff
	v_lshrrev_b32_e32 v3, 21, v3
; %bb.2101:
	s_andn2_saveexec_b32 s4, s4
; %bb.2102:
	v_add_f32_e64 v3, 0x43000000, |v2|
; %bb.2103:
	s_or_b32 exec_lo, exec_lo, s4
                                        ; implicit-def: $vgpr4
.LBB9_2104:
	s_andn2_saveexec_b32 s3, s3
; %bb.2105:
	v_mov_b32_e32 v3, 0x7f
	v_cmp_lt_u32_e32 vcc_lo, 0x7f800000, v4
	v_cndmask_b32_e32 v3, 0x7c, v3, vcc_lo
; %bb.2106:
	s_or_b32 exec_lo, exec_lo, s3
	v_lshrrev_b32_e32 v2, 24, v2
	v_and_or_b32 v2, 0x80, v2, v3
	global_store_byte v[0:1], v2, off
.LBB9_2107:
	s_mov_b32 s3, 0
	s_mov_b32 s4, -1
.LBB9_2108:
	s_andn2_b32 vcc_lo, exec_lo, s3
	s_mov_b32 s3, 0
	s_cbranch_vccnz .LBB9_2115
; %bb.2109:
	s_cmp_gt_i32 s2, 14
	s_mov_b32 s3, -1
	s_cbranch_scc0 .LBB9_2113
; %bb.2110:
	s_cmp_eq_u32 s2, 15
	s_mov_b32 s0, -1
	s_cbranch_scc0 .LBB9_2112
; %bb.2111:
	v_cvt_f32_f64_e32 v2, v[8:9]
	s_mov_b32 s0, 0
	s_mov_b32 s4, -1
	v_bfe_u32 v3, v2, 16, 1
	v_cmp_o_f32_e32 vcc_lo, v2, v2
	v_add3_u32 v2, v2, v3, 0x7fff
	v_mov_b32_e32 v3, 0x7fc0
	v_cndmask_b32_sdwa v2, v3, v2, vcc_lo dst_sel:DWORD dst_unused:UNUSED_PAD src0_sel:DWORD src1_sel:WORD_1
	global_store_short v[0:1], v2, off
.LBB9_2112:
	s_mov_b32 s3, 0
.LBB9_2113:
	s_and_b32 vcc_lo, exec_lo, s3
	s_mov_b32 s3, 0
	s_cbranch_vccz .LBB9_2115
; %bb.2114:
	s_cmp_lg_u32 s2, 11
	s_mov_b32 s3, -1
	s_cselect_b32 s0, -1, 0
.LBB9_2115:
	s_and_b32 vcc_lo, exec_lo, s0
	s_cbranch_vccnz .LBB9_2251
; %bb.2116:
	s_andn2_b32 vcc_lo, exec_lo, s3
	s_cbranch_vccnz .LBB9_2118
.LBB9_2117:
	v_cmp_neq_f64_e32 vcc_lo, 0, v[8:9]
	s_mov_b32 s4, -1
	v_cndmask_b32_e64 v2, 0, 1, vcc_lo
	global_store_byte v[0:1], v2, off
.LBB9_2118:
	s_mov_b32 s0, 0
	s_branch .LBB9_2120
.LBB9_2119:
	s_mov_b32 s0, -1
	s_mov_b32 s4, 0
.LBB9_2120:
	s_and_b32 vcc_lo, exec_lo, s0
	s_cbranch_vccz .LBB9_2159
; %bb.2121:
	s_and_b32 s0, 0xffff, s6
	s_mov_b32 s2, -1
	s_cmp_lt_i32 s0, 5
	s_cbranch_scc1 .LBB9_2142
; %bb.2122:
	s_cmp_lt_i32 s0, 8
	s_cbranch_scc1 .LBB9_2132
; %bb.2123:
	;; [unrolled: 3-line block ×3, first 2 shown]
	s_cmp_gt_i32 s0, 9
	s_cbranch_scc0 .LBB9_2126
; %bb.2125:
	v_mov_b32_e32 v10, 0
	s_mov_b32 s2, 0
	v_mov_b32_e32 v11, v10
	global_store_dwordx4 v[0:1], v[8:11], off
.LBB9_2126:
	s_andn2_b32 vcc_lo, exec_lo, s2
	s_cbranch_vccnz .LBB9_2128
; %bb.2127:
	v_cvt_f32_f64_e32 v2, v[8:9]
	v_mov_b32_e32 v3, 0
	global_store_dwordx2 v[0:1], v[2:3], off
.LBB9_2128:
	s_mov_b32 s2, 0
.LBB9_2129:
	s_andn2_b32 vcc_lo, exec_lo, s2
	s_cbranch_vccnz .LBB9_2131
; %bb.2130:
	v_and_or_b32 v2, 0x1ff, v9, v8
	v_lshrrev_b32_e32 v3, 8, v9
	v_bfe_u32 v4, v9, 20, 11
	v_cmp_ne_u32_e32 vcc_lo, 0, v2
	v_sub_nc_u32_e32 v5, 0x3f1, v4
	v_add_nc_u32_e32 v4, 0xfffffc10, v4
	v_cndmask_b32_e64 v2, 0, 1, vcc_lo
	v_and_or_b32 v2, 0xffe, v3, v2
	v_med3_i32 v3, v5, 0, 13
	v_or_b32_e32 v5, 0x1000, v2
	v_lshrrev_b32_e32 v6, v3, v5
	v_lshlrev_b32_e32 v3, v3, v6
	v_cmp_ne_u32_e32 vcc_lo, v3, v5
	v_lshl_or_b32 v5, v4, 12, v2
	v_cndmask_b32_e64 v3, 0, 1, vcc_lo
	v_cmp_gt_i32_e32 vcc_lo, 1, v4
	v_or_b32_e32 v3, v6, v3
	v_cndmask_b32_e32 v3, v5, v3, vcc_lo
	v_and_b32_e32 v5, 7, v3
	v_lshrrev_b32_e32 v3, 2, v3
	v_cmp_lt_i32_e32 vcc_lo, 5, v5
	v_cndmask_b32_e64 v6, 0, 1, vcc_lo
	v_cmp_eq_u32_e32 vcc_lo, 3, v5
	v_cndmask_b32_e64 v5, 0, 1, vcc_lo
	v_cmp_ne_u32_e32 vcc_lo, 0, v2
	v_or_b32_e32 v5, v5, v6
	v_mov_b32_e32 v6, 0x7e00
	v_add_nc_u32_e32 v3, v3, v5
	v_cndmask_b32_e32 v2, 0x7c00, v6, vcc_lo
	v_cmp_gt_i32_e32 vcc_lo, 31, v4
	v_cndmask_b32_e32 v3, 0x7c00, v3, vcc_lo
	v_cmp_eq_u32_e32 vcc_lo, 0x40f, v4
	v_cndmask_b32_e32 v2, v3, v2, vcc_lo
	v_lshrrev_b32_e32 v3, 16, v9
	v_and_or_b32 v2, 0x8000, v3, v2
	v_and_b32_e32 v2, 0xffff, v2
	global_store_dword v[0:1], v2, off
.LBB9_2131:
	s_mov_b32 s2, 0
.LBB9_2132:
	s_andn2_b32 vcc_lo, exec_lo, s2
	s_cbranch_vccnz .LBB9_2141
; %bb.2133:
	s_cmp_lt_i32 s0, 6
	s_mov_b32 s2, -1
	s_cbranch_scc1 .LBB9_2139
; %bb.2134:
	s_cmp_gt_i32 s0, 6
	s_cbranch_scc0 .LBB9_2136
; %bb.2135:
	s_mov_b32 s2, 0
	global_store_dwordx2 v[0:1], v[8:9], off
.LBB9_2136:
	s_andn2_b32 vcc_lo, exec_lo, s2
	s_cbranch_vccnz .LBB9_2138
; %bb.2137:
	v_cvt_f32_f64_e32 v2, v[8:9]
	global_store_dword v[0:1], v2, off
.LBB9_2138:
	s_mov_b32 s2, 0
.LBB9_2139:
	s_andn2_b32 vcc_lo, exec_lo, s2
	s_cbranch_vccnz .LBB9_2141
; %bb.2140:
	v_and_or_b32 v2, 0x1ff, v9, v8
	v_lshrrev_b32_e32 v3, 8, v9
	v_bfe_u32 v4, v9, 20, 11
	v_cmp_ne_u32_e32 vcc_lo, 0, v2
	v_sub_nc_u32_e32 v5, 0x3f1, v4
	v_add_nc_u32_e32 v4, 0xfffffc10, v4
	v_cndmask_b32_e64 v2, 0, 1, vcc_lo
	v_and_or_b32 v2, 0xffe, v3, v2
	v_med3_i32 v3, v5, 0, 13
	v_or_b32_e32 v5, 0x1000, v2
	v_lshrrev_b32_e32 v6, v3, v5
	v_lshlrev_b32_e32 v3, v3, v6
	v_cmp_ne_u32_e32 vcc_lo, v3, v5
	v_lshl_or_b32 v5, v4, 12, v2
	v_cndmask_b32_e64 v3, 0, 1, vcc_lo
	v_cmp_gt_i32_e32 vcc_lo, 1, v4
	v_or_b32_e32 v3, v6, v3
	v_cndmask_b32_e32 v3, v5, v3, vcc_lo
	v_and_b32_e32 v5, 7, v3
	v_lshrrev_b32_e32 v3, 2, v3
	v_cmp_lt_i32_e32 vcc_lo, 5, v5
	v_cndmask_b32_e64 v6, 0, 1, vcc_lo
	v_cmp_eq_u32_e32 vcc_lo, 3, v5
	v_cndmask_b32_e64 v5, 0, 1, vcc_lo
	v_cmp_ne_u32_e32 vcc_lo, 0, v2
	v_or_b32_e32 v5, v5, v6
	v_mov_b32_e32 v6, 0x7e00
	v_add_nc_u32_e32 v3, v3, v5
	v_cndmask_b32_e32 v2, 0x7c00, v6, vcc_lo
	v_cmp_gt_i32_e32 vcc_lo, 31, v4
	v_cndmask_b32_e32 v3, 0x7c00, v3, vcc_lo
	v_cmp_eq_u32_e32 vcc_lo, 0x40f, v4
	v_cndmask_b32_e32 v2, v3, v2, vcc_lo
	v_lshrrev_b32_e32 v3, 16, v9
	v_and_or_b32 v2, 0x8000, v3, v2
	global_store_short v[0:1], v2, off
.LBB9_2141:
	s_mov_b32 s2, 0
.LBB9_2142:
	s_andn2_b32 vcc_lo, exec_lo, s2
	s_cbranch_vccnz .LBB9_2158
; %bb.2143:
	s_cmp_lt_i32 s0, 2
	s_mov_b32 s2, -1
	s_cbranch_scc1 .LBB9_2153
; %bb.2144:
	s_cmp_lt_i32 s0, 3
	s_cbranch_scc1 .LBB9_2150
; %bb.2145:
	s_cmp_gt_i32 s0, 3
	s_cbranch_scc0 .LBB9_2147
; %bb.2146:
	v_trunc_f64_e32 v[2:3], v[8:9]
	s_mov_b32 s2, 0
	v_ldexp_f64 v[4:5], v[2:3], 0xffffffe0
	v_floor_f64_e32 v[4:5], v[4:5]
	v_fma_f64 v[2:3], 0xc1f00000, v[4:5], v[2:3]
	v_cvt_i32_f64_e32 v4, v[4:5]
	v_cvt_u32_f64_e32 v3, v[2:3]
	global_store_dwordx2 v[0:1], v[3:4], off
.LBB9_2147:
	s_andn2_b32 vcc_lo, exec_lo, s2
	s_cbranch_vccnz .LBB9_2149
; %bb.2148:
	v_cvt_i32_f64_e32 v2, v[8:9]
	global_store_dword v[0:1], v2, off
.LBB9_2149:
	s_mov_b32 s2, 0
.LBB9_2150:
	s_andn2_b32 vcc_lo, exec_lo, s2
	s_cbranch_vccnz .LBB9_2152
; %bb.2151:
	v_cvt_i32_f64_e32 v2, v[8:9]
	global_store_short v[0:1], v2, off
.LBB9_2152:
	s_mov_b32 s2, 0
.LBB9_2153:
	s_andn2_b32 vcc_lo, exec_lo, s2
	s_cbranch_vccnz .LBB9_2158
; %bb.2154:
	s_cmp_gt_i32 s0, 0
	s_mov_b32 s0, -1
	s_cbranch_scc0 .LBB9_2156
; %bb.2155:
	v_cvt_i32_f64_e32 v2, v[8:9]
	s_mov_b32 s0, 0
	global_store_byte v[0:1], v2, off
.LBB9_2156:
	s_andn2_b32 vcc_lo, exec_lo, s0
	s_cbranch_vccnz .LBB9_2158
; %bb.2157:
	v_trunc_f64_e32 v[2:3], v[8:9]
	v_ldexp_f64 v[4:5], v[2:3], 0xffffffe0
	v_floor_f64_e32 v[4:5], v[4:5]
	v_fma_f64 v[2:3], 0xc1f00000, v[4:5], v[2:3]
	v_cvt_u32_f64_e32 v2, v[2:3]
	global_store_byte v[0:1], v2, off
.LBB9_2158:
	s_mov_b32 s4, -1
.LBB9_2159:
	s_andn2_b32 vcc_lo, exec_lo, s4
	s_cbranch_vccnz .LBB9_2236
; %bb.2160:
	v_add_co_u32 v0, s0, s8, v14
	v_add_co_ci_u32_e64 v1, null, s9, 0, s0
	s_cmp_lt_i32 s6, 11
	s_cbranch_scc1 .LBB9_2237
; %bb.2161:
	s_and_b32 s2, 0xffff, s6
	s_mov_b32 s4, -1
	s_mov_b32 s3, 0
	s_cmp_gt_i32 s2, 25
	s_mov_b32 s0, 0
	s_cbranch_scc0 .LBB9_2194
; %bb.2162:
	s_cmp_gt_i32 s2, 28
	s_cbranch_scc0 .LBB9_2178
; %bb.2163:
	s_cmp_gt_i32 s2, 43
	;; [unrolled: 3-line block ×3, first 2 shown]
	s_cbranch_scc0 .LBB9_2168
; %bb.2165:
	s_cmp_eq_u32 s2, 46
	s_mov_b32 s0, -1
	s_cbranch_scc0 .LBB9_2167
; %bb.2166:
	v_cvt_f32_f64_e32 v2, v[12:13]
	s_mov_b32 s0, 0
	v_bfe_u32 v3, v2, 16, 1
	v_cmp_o_f32_e32 vcc_lo, v2, v2
	v_add3_u32 v2, v2, v3, 0x7fff
	v_mov_b32_e32 v3, 0x7fc0
	v_cndmask_b32_sdwa v2, v3, v2, vcc_lo dst_sel:DWORD dst_unused:UNUSED_PAD src0_sel:DWORD src1_sel:WORD_1
	global_store_dword v[0:1], v2, off
.LBB9_2167:
	s_mov_b32 s4, 0
.LBB9_2168:
	s_and_b32 vcc_lo, exec_lo, s4
	s_cbranch_vccz .LBB9_2173
; %bb.2169:
	s_cmp_eq_u32 s2, 44
	s_mov_b32 s0, -1
	s_cbranch_scc0 .LBB9_2173
; %bb.2170:
	v_cvt_f32_f64_e32 v2, v[12:13]
	v_mov_b32_e32 v3, 0xff
	s_mov_b32 s4, exec_lo
	v_bfe_u32 v4, v2, 23, 8
	v_cmpx_ne_u32_e32 0xff, v4
	s_cbranch_execz .LBB9_2172
; %bb.2171:
	v_and_b32_e32 v3, 0x400000, v2
	v_and_or_b32 v4, 0x3fffff, v2, v4
	v_lshrrev_b32_e32 v2, 23, v2
	v_cmp_ne_u32_e32 vcc_lo, 0, v3
	v_cmp_ne_u32_e64 s0, 0, v4
	s_and_b32 s0, vcc_lo, s0
	v_cndmask_b32_e64 v3, 0, 1, s0
	v_add_nc_u32_e32 v3, v2, v3
.LBB9_2172:
	s_or_b32 exec_lo, exec_lo, s4
	s_mov_b32 s0, 0
	global_store_byte v[0:1], v3, off
.LBB9_2173:
	s_mov_b32 s4, 0
.LBB9_2174:
	s_and_b32 vcc_lo, exec_lo, s4
	s_cbranch_vccz .LBB9_2177
; %bb.2175:
	s_cmp_eq_u32 s2, 29
	s_mov_b32 s0, -1
	s_cbranch_scc0 .LBB9_2177
; %bb.2176:
	v_trunc_f64_e32 v[2:3], v[12:13]
	s_mov_b32 s0, 0
	v_ldexp_f64 v[4:5], v[2:3], 0xffffffe0
	v_floor_f64_e32 v[4:5], v[4:5]
	v_fma_f64 v[2:3], 0xc1f00000, v[4:5], v[2:3]
	v_cvt_u32_f64_e32 v4, v[4:5]
	v_cvt_u32_f64_e32 v3, v[2:3]
	global_store_dwordx2 v[0:1], v[3:4], off
.LBB9_2177:
	s_mov_b32 s4, 0
.LBB9_2178:
	s_and_b32 vcc_lo, exec_lo, s4
	s_cbranch_vccz .LBB9_2193
; %bb.2179:
	s_cmp_lt_i32 s2, 27
	s_mov_b32 s4, -1
	s_cbranch_scc1 .LBB9_2185
; %bb.2180:
	s_cmp_gt_i32 s2, 27
	s_cbranch_scc0 .LBB9_2182
; %bb.2181:
	v_cvt_u32_f64_e32 v2, v[12:13]
	s_mov_b32 s4, 0
	global_store_dword v[0:1], v2, off
.LBB9_2182:
	s_andn2_b32 vcc_lo, exec_lo, s4
	s_cbranch_vccnz .LBB9_2184
; %bb.2183:
	v_cvt_u32_f64_e32 v2, v[12:13]
	global_store_short v[0:1], v2, off
.LBB9_2184:
	s_mov_b32 s4, 0
.LBB9_2185:
	s_andn2_b32 vcc_lo, exec_lo, s4
	s_cbranch_vccnz .LBB9_2193
; %bb.2186:
	v_cvt_f32_f64_e32 v2, v[12:13]
	v_mov_b32_e32 v4, 0x80
	s_mov_b32 s4, exec_lo
	v_and_b32_e32 v3, 0x7fffffff, v2
	v_cmpx_gt_u32_e32 0x43800000, v3
	s_cbranch_execz .LBB9_2192
; %bb.2187:
	v_cmp_lt_u32_e32 vcc_lo, 0x3bffffff, v3
	s_mov_b32 s5, 0
                                        ; implicit-def: $vgpr3
	s_and_saveexec_b32 s7, vcc_lo
	s_xor_b32 s7, exec_lo, s7
	s_cbranch_execz .LBB9_2254
; %bb.2188:
	v_bfe_u32 v3, v2, 20, 1
	s_mov_b32 s5, exec_lo
	v_add3_u32 v3, v2, v3, 0x487ffff
	v_lshrrev_b32_e32 v3, 20, v3
	s_andn2_saveexec_b32 s7, s7
	s_cbranch_execnz .LBB9_2255
.LBB9_2189:
	s_or_b32 exec_lo, exec_lo, s7
	v_mov_b32_e32 v4, 0
	s_and_saveexec_b32 s7, s5
.LBB9_2190:
	v_lshrrev_b32_e32 v2, 24, v2
	v_and_or_b32 v4, 0x80, v2, v3
.LBB9_2191:
	s_or_b32 exec_lo, exec_lo, s7
.LBB9_2192:
	s_or_b32 exec_lo, exec_lo, s4
	global_store_byte v[0:1], v4, off
.LBB9_2193:
	s_mov_b32 s4, 0
.LBB9_2194:
	s_and_b32 vcc_lo, exec_lo, s4
	s_cbranch_vccz .LBB9_2234
; %bb.2195:
	s_cmp_gt_i32 s2, 22
	s_mov_b32 s3, -1
	s_cbranch_scc0 .LBB9_2227
; %bb.2196:
	s_cmp_lt_i32 s2, 24
	s_cbranch_scc1 .LBB9_2216
; %bb.2197:
	s_cmp_gt_i32 s2, 24
	s_cbranch_scc0 .LBB9_2205
; %bb.2198:
	v_cvt_f32_f64_e32 v2, v[12:13]
	v_mov_b32_e32 v4, 0x80
	s_mov_b32 s3, exec_lo
	v_and_b32_e32 v3, 0x7fffffff, v2
	v_cmpx_gt_u32_e32 0x47800000, v3
	s_cbranch_execz .LBB9_2204
; %bb.2199:
	v_cmp_lt_u32_e32 vcc_lo, 0x37ffffff, v3
	s_mov_b32 s4, 0
                                        ; implicit-def: $vgpr3
	s_and_saveexec_b32 s5, vcc_lo
	s_xor_b32 s5, exec_lo, s5
	s_cbranch_execz .LBB9_2257
; %bb.2200:
	v_bfe_u32 v3, v2, 21, 1
	s_mov_b32 s4, exec_lo
	v_add3_u32 v3, v2, v3, 0x88fffff
	v_lshrrev_b32_e32 v3, 21, v3
	s_andn2_saveexec_b32 s5, s5
	s_cbranch_execnz .LBB9_2258
.LBB9_2201:
	s_or_b32 exec_lo, exec_lo, s5
	v_mov_b32_e32 v4, 0
	s_and_saveexec_b32 s5, s4
.LBB9_2202:
	v_lshrrev_b32_e32 v2, 24, v2
	v_and_or_b32 v4, 0x80, v2, v3
.LBB9_2203:
	s_or_b32 exec_lo, exec_lo, s5
.LBB9_2204:
	s_or_b32 exec_lo, exec_lo, s3
	s_mov_b32 s3, 0
	global_store_byte v[0:1], v4, off
.LBB9_2205:
	s_and_b32 vcc_lo, exec_lo, s3
	s_cbranch_vccz .LBB9_2215
; %bb.2206:
	v_cvt_f32_f64_e32 v2, v[12:13]
	s_mov_b32 s3, exec_lo
                                        ; implicit-def: $vgpr3
	v_and_b32_e32 v4, 0x7fffffff, v2
	v_cmpx_gt_u32_e32 0x43f00000, v4
	s_xor_b32 s3, exec_lo, s3
	s_cbranch_execz .LBB9_2212
; %bb.2207:
	s_mov_b32 s4, exec_lo
                                        ; implicit-def: $vgpr3
	v_cmpx_lt_u32_e32 0x3c7fffff, v4
	s_xor_b32 s4, exec_lo, s4
; %bb.2208:
	v_bfe_u32 v3, v2, 20, 1
	v_add3_u32 v3, v2, v3, 0x407ffff
	v_and_b32_e32 v4, 0xff00000, v3
	v_lshrrev_b32_e32 v3, 20, v3
	v_cmp_ne_u32_e32 vcc_lo, 0x7f00000, v4
	v_cndmask_b32_e32 v3, 0x7e, v3, vcc_lo
; %bb.2209:
	s_andn2_saveexec_b32 s4, s4
; %bb.2210:
	v_add_f32_e64 v3, 0x46800000, |v2|
; %bb.2211:
	s_or_b32 exec_lo, exec_lo, s4
                                        ; implicit-def: $vgpr4
.LBB9_2212:
	s_andn2_saveexec_b32 s3, s3
; %bb.2213:
	v_mov_b32_e32 v3, 0x7f
	v_cmp_lt_u32_e32 vcc_lo, 0x7f800000, v4
	v_cndmask_b32_e32 v3, 0x7e, v3, vcc_lo
; %bb.2214:
	s_or_b32 exec_lo, exec_lo, s3
	v_lshrrev_b32_e32 v2, 24, v2
	v_and_or_b32 v2, 0x80, v2, v3
	global_store_byte v[0:1], v2, off
.LBB9_2215:
	s_mov_b32 s3, 0
.LBB9_2216:
	s_andn2_b32 vcc_lo, exec_lo, s3
	s_cbranch_vccnz .LBB9_2226
; %bb.2217:
	v_cvt_f32_f64_e32 v2, v[12:13]
	s_mov_b32 s3, exec_lo
                                        ; implicit-def: $vgpr3
	v_and_b32_e32 v4, 0x7fffffff, v2
	v_cmpx_gt_u32_e32 0x47800000, v4
	s_xor_b32 s3, exec_lo, s3
	s_cbranch_execz .LBB9_2223
; %bb.2218:
	s_mov_b32 s4, exec_lo
                                        ; implicit-def: $vgpr3
	v_cmpx_lt_u32_e32 0x387fffff, v4
	s_xor_b32 s4, exec_lo, s4
; %bb.2219:
	v_bfe_u32 v3, v2, 21, 1
	v_add3_u32 v3, v2, v3, 0x80fffff
	v_lshrrev_b32_e32 v3, 21, v3
; %bb.2220:
	s_andn2_saveexec_b32 s4, s4
; %bb.2221:
	v_add_f32_e64 v3, 0x43000000, |v2|
; %bb.2222:
	s_or_b32 exec_lo, exec_lo, s4
                                        ; implicit-def: $vgpr4
.LBB9_2223:
	s_andn2_saveexec_b32 s3, s3
; %bb.2224:
	v_mov_b32_e32 v3, 0x7f
	v_cmp_lt_u32_e32 vcc_lo, 0x7f800000, v4
	v_cndmask_b32_e32 v3, 0x7c, v3, vcc_lo
; %bb.2225:
	s_or_b32 exec_lo, exec_lo, s3
	v_lshrrev_b32_e32 v2, 24, v2
	v_and_or_b32 v2, 0x80, v2, v3
	global_store_byte v[0:1], v2, off
.LBB9_2226:
	s_mov_b32 s3, 0
.LBB9_2227:
	s_andn2_b32 vcc_lo, exec_lo, s3
	s_mov_b32 s3, 0
	s_cbranch_vccnz .LBB9_2234
; %bb.2228:
	s_cmp_gt_i32 s2, 14
	s_mov_b32 s3, -1
	s_cbranch_scc0 .LBB9_2232
; %bb.2229:
	s_cmp_eq_u32 s2, 15
	s_mov_b32 s0, -1
	s_cbranch_scc0 .LBB9_2231
; %bb.2230:
	v_cvt_f32_f64_e32 v2, v[12:13]
	s_mov_b32 s0, 0
	v_bfe_u32 v3, v2, 16, 1
	v_cmp_o_f32_e32 vcc_lo, v2, v2
	v_add3_u32 v2, v2, v3, 0x7fff
	v_mov_b32_e32 v3, 0x7fc0
	v_cndmask_b32_sdwa v2, v3, v2, vcc_lo dst_sel:DWORD dst_unused:UNUSED_PAD src0_sel:DWORD src1_sel:WORD_1
	global_store_short v[0:1], v2, off
.LBB9_2231:
	s_mov_b32 s3, 0
.LBB9_2232:
	s_and_b32 vcc_lo, exec_lo, s3
	s_mov_b32 s3, 0
	s_cbranch_vccz .LBB9_2234
; %bb.2233:
	s_cmp_lg_u32 s2, 11
	s_mov_b32 s3, -1
	s_cselect_b32 s0, -1, 0
.LBB9_2234:
	s_and_b32 vcc_lo, exec_lo, s0
	s_cbranch_vccnz .LBB9_2256
.LBB9_2235:
	s_mov_b32 s0, 0
	s_branch .LBB9_1837
.LBB9_2236:
	s_mov_b32 s0, 0
	s_mov_b32 s3, 0
                                        ; implicit-def: $vgpr0_vgpr1
                                        ; implicit-def: $sgpr6
	s_branch .LBB9_1837
.LBB9_2237:
	s_mov_b32 s3, 0
	s_mov_b32 s0, -1
	s_branch .LBB9_1837
.LBB9_2238:
	s_or_b32 s1, s1, exec_lo
	s_trap 2
	s_cbranch_execz .LBB9_1694
	s_branch .LBB9_1695
.LBB9_2239:
	s_andn2_saveexec_b32 s10, s10
	s_cbranch_execz .LBB9_1786
.LBB9_2240:
	v_add_f32_e64 v3, 0x46000000, |v2|
	s_andn2_b32 s7, s7, exec_lo
	v_and_b32_e32 v3, 0xff, v3
	v_cmp_ne_u32_e32 vcc_lo, 0, v3
	s_and_b32 s11, vcc_lo, exec_lo
	s_or_b32 s7, s7, s11
	s_or_b32 exec_lo, exec_lo, s10
	v_mov_b32_e32 v7, 0
	s_and_saveexec_b32 s10, s7
	s_cbranch_execnz .LBB9_1787
	s_branch .LBB9_1788
.LBB9_2241:
	s_or_b32 s1, s1, exec_lo
	s_trap 2
	s_cbranch_execz .LBB9_1834
	s_branch .LBB9_1835
.LBB9_2242:
	s_andn2_saveexec_b32 s7, s7
	s_cbranch_execz .LBB9_1799
.LBB9_2243:
	v_add_f32_e64 v3, 0x42800000, |v2|
	s_andn2_b32 s6, s6, exec_lo
	v_and_b32_e32 v3, 0xff, v3
	v_cmp_ne_u32_e32 vcc_lo, 0, v3
	s_and_b32 s10, vcc_lo, exec_lo
	s_or_b32 s6, s6, s10
	s_or_b32 exec_lo, exec_lo, s7
	v_mov_b32_e32 v7, 0
	s_and_saveexec_b32 s7, s6
	s_cbranch_execnz .LBB9_1800
	s_branch .LBB9_1801
.LBB9_2244:
	s_andn2_saveexec_b32 s7, s7
	s_cbranch_execz .LBB9_1950
.LBB9_2245:
	v_add_f32_e64 v3, 0x46000000, |v2|
	s_andn2_b32 s5, s5, exec_lo
	v_and_b32_e32 v3, 0xff, v3
	v_cmp_ne_u32_e32 vcc_lo, 0, v3
	s_and_b32 s10, vcc_lo, exec_lo
	s_or_b32 s5, s5, s10
	s_or_b32 exec_lo, exec_lo, s7
	v_mov_b32_e32 v6, 0
	s_and_saveexec_b32 s7, s5
	s_cbranch_execnz .LBB9_1951
	s_branch .LBB9_1952
.LBB9_2246:
	s_or_b32 s1, s1, exec_lo
	s_trap 2
	s_cbranch_execz .LBB9_1998
	s_branch .LBB9_1999
.LBB9_2247:
	s_andn2_saveexec_b32 s5, s5
	s_cbranch_execz .LBB9_1963
.LBB9_2248:
	v_add_f32_e64 v3, 0x42800000, |v2|
	s_andn2_b32 s4, s4, exec_lo
	v_and_b32_e32 v3, 0xff, v3
	v_cmp_ne_u32_e32 vcc_lo, 0, v3
	s_and_b32 s7, vcc_lo, exec_lo
	s_or_b32 s4, s4, s7
	s_or_b32 exec_lo, exec_lo, s5
	v_mov_b32_e32 v6, 0
	s_and_saveexec_b32 s5, s4
	s_cbranch_execnz .LBB9_1964
	s_branch .LBB9_1965
.LBB9_2249:
	s_andn2_saveexec_b32 s7, s7
	s_cbranch_execz .LBB9_2069
.LBB9_2250:
	v_add_f32_e64 v3, 0x46000000, |v2|
	s_andn2_b32 s5, s5, exec_lo
	v_and_b32_e32 v3, 0xff, v3
	v_cmp_ne_u32_e32 vcc_lo, 0, v3
	s_and_b32 s10, vcc_lo, exec_lo
	s_or_b32 s5, s5, s10
	s_or_b32 exec_lo, exec_lo, s7
	v_mov_b32_e32 v4, 0
	s_and_saveexec_b32 s7, s5
	s_cbranch_execnz .LBB9_2070
	s_branch .LBB9_2071
.LBB9_2251:
	s_or_b32 s1, s1, exec_lo
	s_trap 2
	s_cbranch_execz .LBB9_2117
	s_branch .LBB9_2118
.LBB9_2252:
	s_andn2_saveexec_b32 s5, s5
	s_cbranch_execz .LBB9_2082
.LBB9_2253:
	v_add_f32_e64 v3, 0x42800000, |v2|
	s_andn2_b32 s4, s4, exec_lo
	v_and_b32_e32 v3, 0xff, v3
	v_cmp_ne_u32_e32 vcc_lo, 0, v3
	s_and_b32 s7, vcc_lo, exec_lo
	s_or_b32 s4, s4, s7
	s_or_b32 exec_lo, exec_lo, s5
	v_mov_b32_e32 v4, 0
	s_and_saveexec_b32 s5, s4
	s_cbranch_execnz .LBB9_2083
	s_branch .LBB9_2084
.LBB9_2254:
	s_andn2_saveexec_b32 s7, s7
	s_cbranch_execz .LBB9_2189
.LBB9_2255:
	v_add_f32_e64 v3, 0x46000000, |v2|
	s_andn2_b32 s5, s5, exec_lo
	v_and_b32_e32 v3, 0xff, v3
	v_cmp_ne_u32_e32 vcc_lo, 0, v3
	s_and_b32 s8, vcc_lo, exec_lo
	s_or_b32 s5, s5, s8
	s_or_b32 exec_lo, exec_lo, s7
	v_mov_b32_e32 v4, 0
	s_and_saveexec_b32 s7, s5
	s_cbranch_execnz .LBB9_2190
	s_branch .LBB9_2191
.LBB9_2256:
	s_mov_b32 s3, 0
	s_or_b32 s1, s1, exec_lo
	s_trap 2
	s_branch .LBB9_2235
.LBB9_2257:
	s_andn2_saveexec_b32 s5, s5
	s_cbranch_execz .LBB9_2201
.LBB9_2258:
	v_add_f32_e64 v3, 0x42800000, |v2|
	s_andn2_b32 s4, s4, exec_lo
	v_and_b32_e32 v3, 0xff, v3
	v_cmp_ne_u32_e32 vcc_lo, 0, v3
	s_and_b32 s7, vcc_lo, exec_lo
	s_or_b32 s4, s4, s7
	s_or_b32 exec_lo, exec_lo, s5
	v_mov_b32_e32 v4, 0
	s_and_saveexec_b32 s5, s4
	s_cbranch_execnz .LBB9_2202
	s_branch .LBB9_2203
	.section	.rodata,"a",@progbits
	.p2align	6, 0x0
	.amdhsa_kernel _ZN2at6native32elementwise_kernel_manual_unrollILi128ELi4EZNS0_15gpu_kernel_implIZZZNS0_12_GLOBAL__N_130modified_bessel_i1_kernel_cudaERNS_18TensorIteratorBaseEENKUlvE_clEvENKUlvE_clEvEUldE_EEvS5_RKT_EUlibE0_EEviT1_
		.amdhsa_group_segment_fixed_size 0
		.amdhsa_private_segment_fixed_size 0
		.amdhsa_kernarg_size 360
		.amdhsa_user_sgpr_count 6
		.amdhsa_user_sgpr_private_segment_buffer 1
		.amdhsa_user_sgpr_dispatch_ptr 0
		.amdhsa_user_sgpr_queue_ptr 0
		.amdhsa_user_sgpr_kernarg_segment_ptr 1
		.amdhsa_user_sgpr_dispatch_id 0
		.amdhsa_user_sgpr_flat_scratch_init 0
		.amdhsa_user_sgpr_private_segment_size 0
		.amdhsa_wavefront_size32 1
		.amdhsa_uses_dynamic_stack 0
		.amdhsa_system_sgpr_private_segment_wavefront_offset 0
		.amdhsa_system_sgpr_workgroup_id_x 1
		.amdhsa_system_sgpr_workgroup_id_y 0
		.amdhsa_system_sgpr_workgroup_id_z 0
		.amdhsa_system_sgpr_workgroup_info 0
		.amdhsa_system_vgpr_workitem_id 0
		.amdhsa_next_free_vgpr 27
		.amdhsa_next_free_sgpr 68
		.amdhsa_reserve_vcc 1
		.amdhsa_reserve_flat_scratch 0
		.amdhsa_float_round_mode_32 0
		.amdhsa_float_round_mode_16_64 0
		.amdhsa_float_denorm_mode_32 3
		.amdhsa_float_denorm_mode_16_64 3
		.amdhsa_dx10_clamp 1
		.amdhsa_ieee_mode 1
		.amdhsa_fp16_overflow 0
		.amdhsa_workgroup_processor_mode 1
		.amdhsa_memory_ordered 1
		.amdhsa_forward_progress 1
		.amdhsa_shared_vgpr_count 0
		.amdhsa_exception_fp_ieee_invalid_op 0
		.amdhsa_exception_fp_denorm_src 0
		.amdhsa_exception_fp_ieee_div_zero 0
		.amdhsa_exception_fp_ieee_overflow 0
		.amdhsa_exception_fp_ieee_underflow 0
		.amdhsa_exception_fp_ieee_inexact 0
		.amdhsa_exception_int_div_zero 0
	.end_amdhsa_kernel
	.section	.text._ZN2at6native32elementwise_kernel_manual_unrollILi128ELi4EZNS0_15gpu_kernel_implIZZZNS0_12_GLOBAL__N_130modified_bessel_i1_kernel_cudaERNS_18TensorIteratorBaseEENKUlvE_clEvENKUlvE_clEvEUldE_EEvS5_RKT_EUlibE0_EEviT1_,"axG",@progbits,_ZN2at6native32elementwise_kernel_manual_unrollILi128ELi4EZNS0_15gpu_kernel_implIZZZNS0_12_GLOBAL__N_130modified_bessel_i1_kernel_cudaERNS_18TensorIteratorBaseEENKUlvE_clEvENKUlvE_clEvEUldE_EEvS5_RKT_EUlibE0_EEviT1_,comdat
.Lfunc_end9:
	.size	_ZN2at6native32elementwise_kernel_manual_unrollILi128ELi4EZNS0_15gpu_kernel_implIZZZNS0_12_GLOBAL__N_130modified_bessel_i1_kernel_cudaERNS_18TensorIteratorBaseEENKUlvE_clEvENKUlvE_clEvEUldE_EEvS5_RKT_EUlibE0_EEviT1_, .Lfunc_end9-_ZN2at6native32elementwise_kernel_manual_unrollILi128ELi4EZNS0_15gpu_kernel_implIZZZNS0_12_GLOBAL__N_130modified_bessel_i1_kernel_cudaERNS_18TensorIteratorBaseEENKUlvE_clEvENKUlvE_clEvEUldE_EEvS5_RKT_EUlibE0_EEviT1_
                                        ; -- End function
	.set _ZN2at6native32elementwise_kernel_manual_unrollILi128ELi4EZNS0_15gpu_kernel_implIZZZNS0_12_GLOBAL__N_130modified_bessel_i1_kernel_cudaERNS_18TensorIteratorBaseEENKUlvE_clEvENKUlvE_clEvEUldE_EEvS5_RKT_EUlibE0_EEviT1_.num_vgpr, 27
	.set _ZN2at6native32elementwise_kernel_manual_unrollILi128ELi4EZNS0_15gpu_kernel_implIZZZNS0_12_GLOBAL__N_130modified_bessel_i1_kernel_cudaERNS_18TensorIteratorBaseEENKUlvE_clEvENKUlvE_clEvEUldE_EEvS5_RKT_EUlibE0_EEviT1_.num_agpr, 0
	.set _ZN2at6native32elementwise_kernel_manual_unrollILi128ELi4EZNS0_15gpu_kernel_implIZZZNS0_12_GLOBAL__N_130modified_bessel_i1_kernel_cudaERNS_18TensorIteratorBaseEENKUlvE_clEvENKUlvE_clEvEUldE_EEvS5_RKT_EUlibE0_EEviT1_.numbered_sgpr, 68
	.set _ZN2at6native32elementwise_kernel_manual_unrollILi128ELi4EZNS0_15gpu_kernel_implIZZZNS0_12_GLOBAL__N_130modified_bessel_i1_kernel_cudaERNS_18TensorIteratorBaseEENKUlvE_clEvENKUlvE_clEvEUldE_EEvS5_RKT_EUlibE0_EEviT1_.num_named_barrier, 0
	.set _ZN2at6native32elementwise_kernel_manual_unrollILi128ELi4EZNS0_15gpu_kernel_implIZZZNS0_12_GLOBAL__N_130modified_bessel_i1_kernel_cudaERNS_18TensorIteratorBaseEENKUlvE_clEvENKUlvE_clEvEUldE_EEvS5_RKT_EUlibE0_EEviT1_.private_seg_size, 0
	.set _ZN2at6native32elementwise_kernel_manual_unrollILi128ELi4EZNS0_15gpu_kernel_implIZZZNS0_12_GLOBAL__N_130modified_bessel_i1_kernel_cudaERNS_18TensorIteratorBaseEENKUlvE_clEvENKUlvE_clEvEUldE_EEvS5_RKT_EUlibE0_EEviT1_.uses_vcc, 1
	.set _ZN2at6native32elementwise_kernel_manual_unrollILi128ELi4EZNS0_15gpu_kernel_implIZZZNS0_12_GLOBAL__N_130modified_bessel_i1_kernel_cudaERNS_18TensorIteratorBaseEENKUlvE_clEvENKUlvE_clEvEUldE_EEvS5_RKT_EUlibE0_EEviT1_.uses_flat_scratch, 0
	.set _ZN2at6native32elementwise_kernel_manual_unrollILi128ELi4EZNS0_15gpu_kernel_implIZZZNS0_12_GLOBAL__N_130modified_bessel_i1_kernel_cudaERNS_18TensorIteratorBaseEENKUlvE_clEvENKUlvE_clEvEUldE_EEvS5_RKT_EUlibE0_EEviT1_.has_dyn_sized_stack, 0
	.set _ZN2at6native32elementwise_kernel_manual_unrollILi128ELi4EZNS0_15gpu_kernel_implIZZZNS0_12_GLOBAL__N_130modified_bessel_i1_kernel_cudaERNS_18TensorIteratorBaseEENKUlvE_clEvENKUlvE_clEvEUldE_EEvS5_RKT_EUlibE0_EEviT1_.has_recursion, 0
	.set _ZN2at6native32elementwise_kernel_manual_unrollILi128ELi4EZNS0_15gpu_kernel_implIZZZNS0_12_GLOBAL__N_130modified_bessel_i1_kernel_cudaERNS_18TensorIteratorBaseEENKUlvE_clEvENKUlvE_clEvEUldE_EEvS5_RKT_EUlibE0_EEviT1_.has_indirect_call, 0
	.section	.AMDGPU.csdata,"",@progbits
; Kernel info:
; codeLenInByte = 65736
; TotalNumSgprs: 70
; NumVgprs: 27
; ScratchSize: 0
; MemoryBound: 1
; FloatMode: 240
; IeeeMode: 1
; LDSByteSize: 0 bytes/workgroup (compile time only)
; SGPRBlocks: 0
; VGPRBlocks: 3
; NumSGPRsForWavesPerEU: 70
; NumVGPRsForWavesPerEU: 27
; Occupancy: 16
; WaveLimiterHint : 1
; COMPUTE_PGM_RSRC2:SCRATCH_EN: 0
; COMPUTE_PGM_RSRC2:USER_SGPR: 6
; COMPUTE_PGM_RSRC2:TRAP_HANDLER: 0
; COMPUTE_PGM_RSRC2:TGID_X_EN: 1
; COMPUTE_PGM_RSRC2:TGID_Y_EN: 0
; COMPUTE_PGM_RSRC2:TGID_Z_EN: 0
; COMPUTE_PGM_RSRC2:TIDIG_COMP_CNT: 0
	.text
	.p2align	2                               ; -- Begin function _ZN2at6native25elementwise_kernel_helperILb0EZZZNS0_12_GLOBAL__N_130modified_bessel_i1_kernel_cudaERNS_18TensorIteratorBaseEENKUlvE_clEvENKUlvE0_clEvEUlfE_NS0_6memory8policies11unroll_baseILi256ESt5arrayIPcLm2EE23TrivialOffsetCalculatorILi1EjESF_NS8_15LoadWithoutCastENS8_16StoreWithoutCastELi4ELi1EEEEEvT0_T1_
	.type	_ZN2at6native25elementwise_kernel_helperILb0EZZZNS0_12_GLOBAL__N_130modified_bessel_i1_kernel_cudaERNS_18TensorIteratorBaseEENKUlvE_clEvENKUlvE0_clEvEUlfE_NS0_6memory8policies11unroll_baseILi256ESt5arrayIPcLm2EE23TrivialOffsetCalculatorILi1EjESF_NS8_15LoadWithoutCastENS8_16StoreWithoutCastELi4ELi1EEEEEvT0_T1_,@function
_ZN2at6native25elementwise_kernel_helperILb0EZZZNS0_12_GLOBAL__N_130modified_bessel_i1_kernel_cudaERNS_18TensorIteratorBaseEENKUlvE_clEvENKUlvE0_clEvEUlfE_NS0_6memory8policies11unroll_baseILi256ESt5arrayIPcLm2EE23TrivialOffsetCalculatorILi1EjESF_NS8_15LoadWithoutCastENS8_16StoreWithoutCastELi4ELi1EEEEEvT0_T1_: ; @_ZN2at6native25elementwise_kernel_helperILb0EZZZNS0_12_GLOBAL__N_130modified_bessel_i1_kernel_cudaERNS_18TensorIteratorBaseEENKUlvE_clEvENKUlvE0_clEvEUlfE_NS0_6memory8policies11unroll_baseILi256ESt5arrayIPcLm2EE23TrivialOffsetCalculatorILi1EjESF_NS8_15LoadWithoutCastENS8_16StoreWithoutCastELi4ELi1EEEEEvT0_T1_
; %bb.0:
	s_waitcnt vmcnt(0) expcnt(0) lgkmcnt(0)
	v_and_b32_e32 v7, 0x3ff, v31
	s_lshl_b32 s6, s12, 10
	v_mov_b32_e32 v12, 0
	v_mov_b32_e32 v13, 0
	v_cmp_lt_i32_e64 s4, v7, v4
	v_or_b32_e32 v5, s6, v7
	v_add_nc_u32_e32 v8, 0x100, v7
	v_mov_b32_e32 v10, v7
	s_and_saveexec_b32 s5, s4
	s_cbranch_execz .LBB10_2
; %bb.1:
	v_mov_b32_e32 v6, 0
	v_lshlrev_b64 v[9:10], 2, v[5:6]
	v_add_co_u32 v9, vcc_lo, v2, v9
	v_add_co_ci_u32_e64 v10, null, v3, v10, vcc_lo
	flat_load_dword v13, v[9:10]
	v_add_nc_u32_e32 v10, 0x100, v7
.LBB10_2:
	s_or_b32 exec_lo, exec_lo, s5
	s_mov_b32 s5, exec_lo
	v_cmpx_lt_i32_e64 v10, v4
	s_cbranch_execz .LBB10_4
; %bb.3:
	v_add_nc_u32_e32 v11, s6, v10
	v_mov_b32_e32 v12, 0
	v_add_nc_u32_e32 v10, 0x100, v10
	v_lshlrev_b64 v[11:12], 2, v[11:12]
	v_add_co_u32 v11, vcc_lo, v2, v11
	v_add_co_ci_u32_e64 v12, null, v3, v12, vcc_lo
	flat_load_dword v12, v[11:12]
.LBB10_4:
	s_or_b32 exec_lo, exec_lo, s5
	v_mov_b32_e32 v6, 0
	v_mov_b32_e32 v9, 0
	s_mov_b32 s5, exec_lo
	v_cmpx_lt_i32_e64 v10, v4
	s_cbranch_execz .LBB10_6
; %bb.5:
	v_add_nc_u32_e32 v14, s6, v10
	v_mov_b32_e32 v15, 0
	v_add_nc_u32_e32 v10, 0x100, v10
	v_lshlrev_b64 v[14:15], 2, v[14:15]
	v_add_co_u32 v14, vcc_lo, v2, v14
	v_add_co_ci_u32_e64 v15, null, v3, v15, vcc_lo
	flat_load_dword v9, v[14:15]
.LBB10_6:
	s_or_b32 exec_lo, exec_lo, s5
	s_mov_b32 s5, exec_lo
	v_cmpx_lt_i32_e64 v10, v4
	s_cbranch_execz .LBB10_8
; %bb.7:
	v_add_nc_u32_e32 v10, s6, v10
	v_mov_b32_e32 v11, 0
	v_lshlrev_b64 v[10:11], 2, v[10:11]
	v_add_co_u32 v2, vcc_lo, v2, v10
	v_add_co_ci_u32_e64 v3, null, v3, v11, vcc_lo
	flat_load_dword v6, v[2:3]
.LBB10_8:
	s_or_b32 exec_lo, exec_lo, s5
	v_mov_b32_e32 v2, 0
	v_mov_b32_e32 v11, v2
	;; [unrolled: 1-line block ×4, first 2 shown]
	s_and_saveexec_b32 s7, s4
	s_cbranch_execz .LBB10_22
; %bb.9:
	s_waitcnt vmcnt(0) lgkmcnt(0)
	v_mul_f32_e64 v3, 0x3fb8aa3b, |v13|
	s_mov_b32 s8, exec_lo
                                        ; implicit-def: $vgpr2
	v_cmpx_ge_f32_e64 0x41000000, |v13|
	s_xor_b32 s8, exec_lo, s8
	s_cbranch_execz .LBB10_15
; %bb.10:
	v_fma_f32 v2, |v13|, 0.5, -2.0
	s_mov_b32 s5, 0x224cf950
	v_rndne_f32_e32 v14, v3
	v_fma_f32 v15, 0x3fb8aa3b, |v13|, -v3
	v_cmp_ngt_f32_e64 vcc_lo, 0xc2ce8ed0, |v13|
	v_fmaak_f32 v10, s5, v2, 0xa3c2be86
	v_cmp_nlt_f32_e64 s5, 0x42b17218, |v13|
	v_sub_f32_e32 v3, v3, v14
	v_fma_f32 v15, 0x32a5705f, |v13|, v15
	v_fmaak_f32 v11, v2, v10, 0xa24cf950
	v_add_f32_e32 v3, v3, v15
	v_add_f32_e32 v11, 0x25331f1f, v11
	v_exp_f32_e32 v3, v3
	v_fma_f32 v10, v2, v11, -v10
	v_add_f32_e32 v10, 0xa69f5554, v10
	v_fma_f32 v11, v2, v10, -v11
	v_add_f32_e32 v11, 0x2808ebf8, v11
	;; [unrolled: 2-line block ×25, first 2 shown]
	v_fma_f32 v2, v2, v10, -v11
	v_cvt_i32_f32_e32 v10, v14
	v_add_f32_e32 v2, 0x3e81531c, v2
	v_ldexp_f32 v3, v3, v10
	v_sub_f32_e32 v2, v2, v11
	v_cndmask_b32_e32 v10, 0, v3, vcc_lo
	v_mul_f32_e32 v2, 0.5, v2
	v_cndmask_b32_e64 v10, 0x7f800000, v10, s5
	s_mov_b32 s5, exec_lo
	v_mul_f32_e64 v3, |v13|, v2
                                        ; implicit-def: $vgpr2
	v_cmpx_ngt_f32_e32 0, v13
	s_xor_b32 s5, exec_lo, s5
; %bb.11:
	v_mul_f32_e32 v2, v10, v3
                                        ; implicit-def: $vgpr10
                                        ; implicit-def: $vgpr3
; %bb.12:
	s_andn2_saveexec_b32 s5, s5
; %bb.13:
	v_mul_f32_e64 v2, v3, -v10
; %bb.14:
	s_or_b32 exec_lo, exec_lo, s5
                                        ; implicit-def: $vgpr13
                                        ; implicit-def: $vgpr3
.LBB10_15:
	s_andn2_saveexec_b32 s8, s8
	s_cbranch_execz .LBB10_21
; %bb.16:
	v_and_b32_e32 v2, 0x7fffffff, v13
	s_mov_b32 s5, 0x230aab6e
	v_div_scale_f32 v10, null, v2, v2, 0x42000000
	v_div_scale_f32 v2, vcc_lo, 0x42000000, v2, 0x42000000
	v_rcp_f32_e32 v11, v10
	v_fma_f32 v14, -v10, v11, 1.0
	v_fmac_f32_e32 v11, v14, v11
	v_mul_f32_e32 v14, v2, v11
	v_fma_f32 v15, -v10, v14, v2
	v_fmac_f32_e32 v14, v15, v11
	v_fma_f32 v15, 0x3fb8aa3b, |v13|, -v3
	v_fma_f32 v2, -v10, v14, v2
	v_fma_f32 v15, 0x32a5705f, |v13|, v15
	v_div_fmas_f32 v2, v2, v11, v14
	v_rndne_f32_e32 v14, v3
	v_cmp_ngt_f32_e64 vcc_lo, 0xc2ce8ed0, |v13|
	v_div_fixup_f32 v2, v2, |v13|, 0x42000000
	v_sub_f32_e32 v3, v3, v14
	v_cvt_i32_f32_e32 v14, v14
	v_add_f32_e32 v2, -2.0, v2
	v_add_f32_e32 v3, v3, v15
	v_fmaak_f32 v10, s5, v2, 0x22a2dc57
	v_exp_f32_e32 v3, v3
	v_cmp_nlt_f32_e64 s5, 0x42b17218, |v13|
	v_fmaak_f32 v11, v2, v10, 0xa30aab6e
	v_add_f32_e32 v11, 0xa456751e, v11
	v_ldexp_f32 v3, v3, v14
	v_fma_f32 v10, v2, v11, -v10
	v_cndmask_b32_e32 v3, 0, v3, vcc_lo
	v_add_f32_e32 v10, 0xa4140365, v10
	v_cndmask_b32_e64 v3, 0x7f800000, v3, s5
	s_mov_b32 s5, exec_lo
	v_fma_f32 v11, v2, v10, -v11
	v_add_f32_e32 v11, 0x25aac8b0, v11
	v_fma_f32 v10, v2, v11, -v10
	v_add_f32_e32 v10, 0x25beb473, v10
	;; [unrolled: 2-line block ×21, first 2 shown]
	v_sub_f32_e32 v10, v2, v11
	v_mul_f32_e64 v11, 0x4f800000, |v13|
                                        ; implicit-def: $vgpr2
	v_cmpx_ngt_f32_e32 0, v13
	s_xor_b32 s9, exec_lo, s5
	s_cbranch_execz .LBB10_18
; %bb.17:
	v_cmp_gt_f32_e64 vcc_lo, 0xf800000, |v13|
	v_mul_f32_e32 v10, 0.5, v10
	v_cndmask_b32_e64 v2, |v13|, v11, vcc_lo
	v_mul_f32_e32 v3, v3, v10
	v_sqrt_f32_e32 v11, v2
	v_add_nc_u32_e32 v13, -1, v11
	v_add_nc_u32_e32 v14, 1, v11
	v_fma_f32 v15, -v13, v11, v2
	v_fma_f32 v16, -v14, v11, v2
	v_cmp_ge_f32_e64 s5, 0, v15
	v_cndmask_b32_e64 v11, v11, v13, s5
	v_cmp_lt_f32_e64 s5, 0, v16
	v_cndmask_b32_e64 v11, v11, v14, s5
	v_mul_f32_e32 v13, 0x37800000, v11
	v_cndmask_b32_e32 v11, v11, v13, vcc_lo
	v_cmp_class_f32_e64 vcc_lo, v2, 0x260
	v_cndmask_b32_e32 v2, v11, v2, vcc_lo
	v_div_scale_f32 v10, null, v2, v2, v3
	v_rcp_f32_e32 v11, v10
	v_fma_f32 v13, -v10, v11, 1.0
	v_fmac_f32_e32 v11, v13, v11
	v_div_scale_f32 v13, vcc_lo, v3, v2, v3
	v_mul_f32_e32 v14, v13, v11
	v_fma_f32 v15, -v10, v14, v13
	v_fmac_f32_e32 v14, v15, v11
	v_fma_f32 v10, -v10, v14, v13
                                        ; implicit-def: $vgpr13
	v_div_fmas_f32 v10, v10, v11, v14
                                        ; implicit-def: $vgpr11
	v_div_fixup_f32 v2, v10, v2, v3
                                        ; implicit-def: $vgpr10
                                        ; implicit-def: $vgpr3
.LBB10_18:
	s_andn2_saveexec_b32 s9, s9
	s_cbranch_execz .LBB10_20
; %bb.19:
	v_cmp_gt_f32_e64 vcc_lo, 0xf800000, |v13|
	v_mul_f32_e32 v10, -0.5, v10
	v_cndmask_b32_e64 v2, |v13|, v11, vcc_lo
	v_mul_f32_e32 v3, v3, v10
	v_sqrt_f32_e32 v11, v2
	v_add_nc_u32_e32 v13, -1, v11
	v_add_nc_u32_e32 v14, 1, v11
	v_fma_f32 v15, -v13, v11, v2
	v_fma_f32 v16, -v14, v11, v2
	v_cmp_ge_f32_e64 s5, 0, v15
	v_cndmask_b32_e64 v11, v11, v13, s5
	v_cmp_lt_f32_e64 s5, 0, v16
	v_cndmask_b32_e64 v11, v11, v14, s5
	v_mul_f32_e32 v13, 0x37800000, v11
	v_cndmask_b32_e32 v11, v11, v13, vcc_lo
	v_cmp_class_f32_e64 vcc_lo, v2, 0x260
	v_cndmask_b32_e32 v2, v11, v2, vcc_lo
	v_div_scale_f32 v10, null, v2, v2, v3
	v_rcp_f32_e32 v11, v10
	v_fma_f32 v13, -v10, v11, 1.0
	v_fmac_f32_e32 v11, v13, v11
	v_div_scale_f32 v13, vcc_lo, v3, v2, v3
	v_mul_f32_e32 v14, v13, v11
	v_fma_f32 v15, -v10, v14, v13
	v_fmac_f32_e32 v14, v15, v11
	v_fma_f32 v10, -v10, v14, v13
	v_div_fmas_f32 v10, v10, v11, v14
	v_div_fixup_f32 v2, v10, v2, v3
.LBB10_20:
	s_or_b32 exec_lo, exec_lo, s9
.LBB10_21:
	s_or_b32 exec_lo, exec_lo, s8
	v_mov_b32_e32 v11, 0
	v_mov_b32_e32 v10, v11
	;; [unrolled: 1-line block ×3, first 2 shown]
.LBB10_22:
	s_or_b32 exec_lo, exec_lo, s7
	s_mov_b32 s7, exec_lo
	v_cmpx_lt_i32_e64 v8, v4
	s_cbranch_execz .LBB10_36
; %bb.23:
	s_waitcnt vmcnt(0) lgkmcnt(0)
	v_mul_f32_e64 v13, 0x3fb8aa3b, |v12|
	s_mov_b32 s8, exec_lo
	v_cmpx_ge_f32_e64 0x41000000, |v12|
	s_xor_b32 s8, exec_lo, s8
                                        ; implicit-def: $vgpr11
	s_cbranch_execz .LBB10_29
; %bb.24:
	v_fma_f32 v11, |v12|, 0.5, -2.0
	s_mov_b32 s5, 0x224cf950
	v_rndne_f32_e32 v16, v13
	v_fma_f32 v17, 0x3fb8aa3b, |v12|, -v13
	v_cmp_ngt_f32_e64 vcc_lo, 0xc2ce8ed0, |v12|
	v_fmaak_f32 v14, s5, v11, 0xa3c2be86
	v_cmp_nlt_f32_e64 s5, 0x42b17218, |v12|
	v_sub_f32_e32 v13, v13, v16
	v_fma_f32 v17, 0x32a5705f, |v12|, v17
	v_fmaak_f32 v15, v11, v14, 0xa24cf950
	v_add_f32_e32 v13, v13, v17
	v_add_f32_e32 v15, 0x25331f1f, v15
	v_exp_f32_e32 v13, v13
	v_fma_f32 v14, v11, v15, -v14
	v_add_f32_e32 v14, 0xa69f5554, v14
	v_fma_f32 v15, v11, v14, -v15
	v_add_f32_e32 v15, 0x2808ebf8, v15
	;; [unrolled: 2-line block ×25, first 2 shown]
	v_fma_f32 v11, v11, v14, -v15
	v_cvt_i32_f32_e32 v14, v16
	v_add_f32_e32 v11, 0x3e81531c, v11
	v_ldexp_f32 v13, v13, v14
	v_sub_f32_e32 v11, v11, v15
	v_cndmask_b32_e32 v14, 0, v13, vcc_lo
	v_cmp_ngt_f32_e32 vcc_lo, 0, v12
	v_mul_f32_e32 v11, 0.5, v11
	v_mul_f32_e64 v13, |v12|, v11
	v_cndmask_b32_e64 v12, 0x7f800000, v14, s5
	s_and_saveexec_b32 s5, vcc_lo
	s_xor_b32 s5, exec_lo, s5
                                        ; implicit-def: $vgpr11
; %bb.25:
	v_mul_f32_e32 v11, v12, v13
                                        ; implicit-def: $vgpr12
                                        ; implicit-def: $vgpr13
; %bb.26:
	s_andn2_saveexec_b32 s5, s5
; %bb.27:
	v_mul_f32_e64 v11, v13, -v12
; %bb.28:
	s_or_b32 exec_lo, exec_lo, s5
                                        ; implicit-def: $vgpr12
                                        ; implicit-def: $vgpr13
.LBB10_29:
	s_andn2_saveexec_b32 s8, s8
	s_cbranch_execz .LBB10_35
; %bb.30:
	v_and_b32_e32 v11, 0x7fffffff, v12
	s_mov_b32 s5, 0x230aab6e
	v_div_scale_f32 v14, null, v11, v11, 0x42000000
	v_div_scale_f32 v11, vcc_lo, 0x42000000, v11, 0x42000000
	v_rcp_f32_e32 v15, v14
	v_fma_f32 v16, -v14, v15, 1.0
	v_fmac_f32_e32 v15, v16, v15
	v_mul_f32_e32 v16, v11, v15
	v_fma_f32 v17, -v14, v16, v11
	v_fmac_f32_e32 v16, v17, v15
	v_fma_f32 v17, 0x3fb8aa3b, |v12|, -v13
	v_fma_f32 v11, -v14, v16, v11
	v_fma_f32 v17, 0x32a5705f, |v12|, v17
	v_div_fmas_f32 v11, v11, v15, v16
	v_rndne_f32_e32 v16, v13
	v_cmp_ngt_f32_e64 vcc_lo, 0xc2ce8ed0, |v12|
	v_div_fixup_f32 v11, v11, |v12|, 0x42000000
	v_sub_f32_e32 v13, v13, v16
	v_cvt_i32_f32_e32 v16, v16
	v_add_f32_e32 v11, -2.0, v11
	v_add_f32_e32 v13, v13, v17
	v_fmaak_f32 v14, s5, v11, 0x22a2dc57
	v_exp_f32_e32 v13, v13
	v_cmp_nlt_f32_e64 s5, 0x42b17218, |v12|
	v_fmaak_f32 v15, v11, v14, 0xa30aab6e
	v_add_f32_e32 v15, 0xa456751e, v15
	v_ldexp_f32 v13, v13, v16
	v_fma_f32 v14, v11, v15, -v14
	v_cndmask_b32_e32 v13, 0, v13, vcc_lo
	v_add_f32_e32 v14, 0xa4140365, v14
	v_cndmask_b32_e64 v13, 0x7f800000, v13, s5
	s_mov_b32 s5, exec_lo
	v_fma_f32 v15, v11, v14, -v15
	v_add_f32_e32 v15, 0x25aac8b0, v15
	v_fma_f32 v14, v11, v15, -v14
	v_add_f32_e32 v14, 0x25beb473, v14
	;; [unrolled: 2-line block ×21, first 2 shown]
	v_sub_f32_e32 v14, v11, v15
	v_mul_f32_e64 v15, 0x4f800000, |v12|
	v_cmpx_ngt_f32_e32 0, v12
	s_xor_b32 s9, exec_lo, s5
                                        ; implicit-def: $vgpr11
	s_cbranch_execz .LBB10_32
; %bb.31:
	v_cmp_gt_f32_e64 vcc_lo, 0xf800000, |v12|
	v_mul_f32_e32 v14, 0.5, v14
	v_cndmask_b32_e64 v11, |v12|, v15, vcc_lo
	v_mul_f32_e32 v13, v13, v14
	v_sqrt_f32_e32 v12, v11
	v_add_nc_u32_e32 v15, -1, v12
	v_add_nc_u32_e32 v16, 1, v12
	v_fma_f32 v17, -v15, v12, v11
	v_fma_f32 v18, -v16, v12, v11
	v_cmp_ge_f32_e64 s5, 0, v17
	v_cndmask_b32_e64 v12, v12, v15, s5
	v_cmp_lt_f32_e64 s5, 0, v18
	v_cndmask_b32_e64 v12, v12, v16, s5
	v_mul_f32_e32 v15, 0x37800000, v12
	v_cndmask_b32_e32 v12, v12, v15, vcc_lo
	v_cmp_class_f32_e64 vcc_lo, v11, 0x260
	v_cndmask_b32_e32 v11, v12, v11, vcc_lo
	v_div_scale_f32 v12, null, v11, v11, v13
	v_rcp_f32_e32 v14, v12
	v_fma_f32 v15, -v12, v14, 1.0
	v_fmac_f32_e32 v14, v15, v14
	v_div_scale_f32 v15, vcc_lo, v13, v11, v13
	v_mul_f32_e32 v16, v15, v14
	v_fma_f32 v17, -v12, v16, v15
	v_fmac_f32_e32 v16, v17, v14
	v_fma_f32 v12, -v12, v16, v15
                                        ; implicit-def: $vgpr15
	v_div_fmas_f32 v12, v12, v14, v16
                                        ; implicit-def: $vgpr14
	v_div_fixup_f32 v11, v12, v11, v13
                                        ; implicit-def: $vgpr12
                                        ; implicit-def: $vgpr13
.LBB10_32:
	s_andn2_saveexec_b32 s9, s9
	s_cbranch_execz .LBB10_34
; %bb.33:
	v_cmp_gt_f32_e64 vcc_lo, 0xf800000, |v12|
	v_mul_f32_e32 v14, -0.5, v14
	v_cndmask_b32_e64 v11, |v12|, v15, vcc_lo
	v_mul_f32_e32 v13, v13, v14
	v_sqrt_f32_e32 v12, v11
	v_add_nc_u32_e32 v15, -1, v12
	v_add_nc_u32_e32 v16, 1, v12
	v_fma_f32 v17, -v15, v12, v11
	v_fma_f32 v18, -v16, v12, v11
	v_cmp_ge_f32_e64 s5, 0, v17
	v_cndmask_b32_e64 v12, v12, v15, s5
	v_cmp_lt_f32_e64 s5, 0, v18
	v_cndmask_b32_e64 v12, v12, v16, s5
	v_mul_f32_e32 v15, 0x37800000, v12
	v_cndmask_b32_e32 v12, v12, v15, vcc_lo
	v_cmp_class_f32_e64 vcc_lo, v11, 0x260
	v_cndmask_b32_e32 v11, v12, v11, vcc_lo
	v_div_scale_f32 v12, null, v11, v11, v13
	v_rcp_f32_e32 v14, v12
	v_fma_f32 v15, -v12, v14, 1.0
	v_fmac_f32_e32 v14, v15, v14
	v_div_scale_f32 v15, vcc_lo, v13, v11, v13
	v_mul_f32_e32 v16, v15, v14
	v_fma_f32 v17, -v12, v16, v15
	v_fmac_f32_e32 v16, v17, v14
	v_fma_f32 v12, -v12, v16, v15
	v_div_fmas_f32 v12, v12, v14, v16
	v_div_fixup_f32 v11, v12, v11, v13
.LBB10_34:
	s_or_b32 exec_lo, exec_lo, s9
.LBB10_35:
	s_or_b32 exec_lo, exec_lo, s8
.LBB10_36:
	s_or_b32 exec_lo, exec_lo, s7
	s_waitcnt vmcnt(0) lgkmcnt(0)
	v_add_nc_u32_e32 v12, 0x200, v7
	s_mov_b32 s7, exec_lo
	v_cmpx_lt_i32_e64 v12, v4
	s_cbranch_execz .LBB10_50
; %bb.37:
	v_mul_f32_e64 v12, 0x3fb8aa3b, |v9|
	s_mov_b32 s8, exec_lo
	v_cmpx_ge_f32_e64 0x41000000, |v9|
	s_xor_b32 s8, exec_lo, s8
                                        ; implicit-def: $vgpr10
	s_cbranch_execz .LBB10_43
; %bb.38:
	v_fma_f32 v10, |v9|, 0.5, -2.0
	s_mov_b32 s5, 0x224cf950
	v_rndne_f32_e32 v15, v12
	v_fma_f32 v16, 0x3fb8aa3b, |v9|, -v12
	v_cmp_ngt_f32_e64 vcc_lo, 0xc2ce8ed0, |v9|
	v_fmaak_f32 v13, s5, v10, 0xa3c2be86
	v_cmp_nlt_f32_e64 s5, 0x42b17218, |v9|
	v_sub_f32_e32 v12, v12, v15
	v_fma_f32 v16, 0x32a5705f, |v9|, v16
	v_fmaak_f32 v14, v10, v13, 0xa24cf950
	v_add_f32_e32 v12, v12, v16
	v_add_f32_e32 v14, 0x25331f1f, v14
	v_exp_f32_e32 v12, v12
	v_fma_f32 v13, v10, v14, -v13
	v_add_f32_e32 v13, 0xa69f5554, v13
	v_fma_f32 v14, v10, v13, -v14
	v_add_f32_e32 v14, 0x2808ebf8, v14
	;; [unrolled: 2-line block ×25, first 2 shown]
	v_fma_f32 v10, v10, v13, -v14
	v_cvt_i32_f32_e32 v13, v15
	v_add_f32_e32 v10, 0x3e81531c, v10
	v_ldexp_f32 v12, v12, v13
	v_sub_f32_e32 v10, v10, v14
	v_cndmask_b32_e32 v13, 0, v12, vcc_lo
	v_cmp_ngt_f32_e32 vcc_lo, 0, v9
	v_mul_f32_e32 v10, 0.5, v10
	v_mul_f32_e64 v12, |v9|, v10
	v_cndmask_b32_e64 v9, 0x7f800000, v13, s5
	s_and_saveexec_b32 s5, vcc_lo
	s_xor_b32 s5, exec_lo, s5
                                        ; implicit-def: $vgpr10
; %bb.39:
	v_mul_f32_e32 v10, v9, v12
                                        ; implicit-def: $vgpr9
                                        ; implicit-def: $vgpr12
; %bb.40:
	s_andn2_saveexec_b32 s5, s5
; %bb.41:
	v_mul_f32_e64 v10, v12, -v9
; %bb.42:
	s_or_b32 exec_lo, exec_lo, s5
                                        ; implicit-def: $vgpr9
                                        ; implicit-def: $vgpr12
.LBB10_43:
	s_andn2_saveexec_b32 s8, s8
	s_cbranch_execz .LBB10_49
; %bb.44:
	v_and_b32_e32 v10, 0x7fffffff, v9
	s_mov_b32 s5, 0x230aab6e
	v_div_scale_f32 v13, null, v10, v10, 0x42000000
	v_div_scale_f32 v10, vcc_lo, 0x42000000, v10, 0x42000000
	v_rcp_f32_e32 v14, v13
	v_fma_f32 v15, -v13, v14, 1.0
	v_fmac_f32_e32 v14, v15, v14
	v_mul_f32_e32 v15, v10, v14
	v_fma_f32 v16, -v13, v15, v10
	v_fmac_f32_e32 v15, v16, v14
	v_fma_f32 v16, 0x3fb8aa3b, |v9|, -v12
	v_fma_f32 v10, -v13, v15, v10
	v_fma_f32 v16, 0x32a5705f, |v9|, v16
	v_div_fmas_f32 v10, v10, v14, v15
	v_rndne_f32_e32 v15, v12
	v_cmp_ngt_f32_e64 vcc_lo, 0xc2ce8ed0, |v9|
	v_div_fixup_f32 v10, v10, |v9|, 0x42000000
	v_sub_f32_e32 v12, v12, v15
	v_cvt_i32_f32_e32 v15, v15
	v_add_f32_e32 v10, -2.0, v10
	v_add_f32_e32 v12, v12, v16
	v_fmaak_f32 v13, s5, v10, 0x22a2dc57
	v_exp_f32_e32 v12, v12
	v_cmp_nlt_f32_e64 s5, 0x42b17218, |v9|
	v_fmaak_f32 v14, v10, v13, 0xa30aab6e
	v_add_f32_e32 v14, 0xa456751e, v14
	v_ldexp_f32 v12, v12, v15
	v_fma_f32 v13, v10, v14, -v13
	v_cndmask_b32_e32 v12, 0, v12, vcc_lo
	v_add_f32_e32 v13, 0xa4140365, v13
	v_cndmask_b32_e64 v12, 0x7f800000, v12, s5
	s_mov_b32 s5, exec_lo
	v_fma_f32 v14, v10, v13, -v14
	v_add_f32_e32 v14, 0x25aac8b0, v14
	v_fma_f32 v13, v10, v14, -v13
	v_add_f32_e32 v13, 0x25beb473, v13
	;; [unrolled: 2-line block ×21, first 2 shown]
	v_sub_f32_e32 v13, v10, v14
	v_mul_f32_e64 v14, 0x4f800000, |v9|
	v_cmpx_ngt_f32_e32 0, v9
	s_xor_b32 s9, exec_lo, s5
                                        ; implicit-def: $vgpr10
	s_cbranch_execz .LBB10_46
; %bb.45:
	v_cmp_gt_f32_e64 vcc_lo, 0xf800000, |v9|
	v_mul_f32_e32 v13, 0.5, v13
	v_cndmask_b32_e64 v9, |v9|, v14, vcc_lo
	v_mul_f32_e32 v12, v12, v13
	v_sqrt_f32_e32 v10, v9
	v_add_nc_u32_e32 v14, -1, v10
	v_add_nc_u32_e32 v15, 1, v10
	v_fma_f32 v16, -v14, v10, v9
	v_fma_f32 v17, -v15, v10, v9
	v_cmp_ge_f32_e64 s5, 0, v16
	v_cndmask_b32_e64 v10, v10, v14, s5
	v_cmp_lt_f32_e64 s5, 0, v17
	v_cndmask_b32_e64 v10, v10, v15, s5
	v_mul_f32_e32 v14, 0x37800000, v10
	v_cndmask_b32_e32 v10, v10, v14, vcc_lo
	v_cmp_class_f32_e64 vcc_lo, v9, 0x260
	v_cndmask_b32_e32 v9, v10, v9, vcc_lo
	v_div_scale_f32 v10, null, v9, v9, v12
	v_rcp_f32_e32 v13, v10
	v_fma_f32 v14, -v10, v13, 1.0
	v_fmac_f32_e32 v13, v14, v13
	v_div_scale_f32 v14, vcc_lo, v12, v9, v12
	v_mul_f32_e32 v15, v14, v13
	v_fma_f32 v16, -v10, v15, v14
	v_fmac_f32_e32 v15, v16, v13
	v_fma_f32 v10, -v10, v15, v14
                                        ; implicit-def: $vgpr14
	v_div_fmas_f32 v10, v10, v13, v15
                                        ; implicit-def: $vgpr13
	v_div_fixup_f32 v10, v10, v9, v12
                                        ; implicit-def: $vgpr9
                                        ; implicit-def: $vgpr12
.LBB10_46:
	s_andn2_saveexec_b32 s9, s9
	s_cbranch_execz .LBB10_48
; %bb.47:
	v_cmp_gt_f32_e64 vcc_lo, 0xf800000, |v9|
	v_mul_f32_e32 v13, -0.5, v13
	v_cndmask_b32_e64 v9, |v9|, v14, vcc_lo
	v_mul_f32_e32 v12, v12, v13
	v_sqrt_f32_e32 v10, v9
	v_add_nc_u32_e32 v14, -1, v10
	v_add_nc_u32_e32 v15, 1, v10
	v_fma_f32 v16, -v14, v10, v9
	v_fma_f32 v17, -v15, v10, v9
	v_cmp_ge_f32_e64 s5, 0, v16
	v_cndmask_b32_e64 v10, v10, v14, s5
	v_cmp_lt_f32_e64 s5, 0, v17
	v_cndmask_b32_e64 v10, v10, v15, s5
	v_mul_f32_e32 v14, 0x37800000, v10
	v_cndmask_b32_e32 v10, v10, v14, vcc_lo
	v_cmp_class_f32_e64 vcc_lo, v9, 0x260
	v_cndmask_b32_e32 v9, v10, v9, vcc_lo
	v_div_scale_f32 v10, null, v9, v9, v12
	v_rcp_f32_e32 v13, v10
	v_fma_f32 v14, -v10, v13, 1.0
	v_fmac_f32_e32 v13, v14, v13
	v_div_scale_f32 v14, vcc_lo, v12, v9, v12
	v_mul_f32_e32 v15, v14, v13
	v_fma_f32 v16, -v10, v15, v14
	v_fmac_f32_e32 v15, v16, v13
	v_fma_f32 v10, -v10, v15, v14
	v_div_fmas_f32 v10, v10, v13, v15
	v_div_fixup_f32 v10, v10, v9, v12
.LBB10_48:
	s_or_b32 exec_lo, exec_lo, s9
.LBB10_49:
	s_or_b32 exec_lo, exec_lo, s8
.LBB10_50:
	s_or_b32 exec_lo, exec_lo, s7
	v_add_nc_u32_e32 v9, 0x300, v7
	s_mov_b32 s7, exec_lo
	v_cmpx_lt_i32_e64 v9, v4
	s_cbranch_execnz .LBB10_56
; %bb.51:
	s_or_b32 exec_lo, exec_lo, s7
	s_and_saveexec_b32 s5, s4
	s_xor_b32 s4, exec_lo, s5
	s_cbranch_execnz .LBB10_69
.LBB10_52:
	s_or_b32 exec_lo, exec_lo, s4
	s_mov_b32 s4, exec_lo
	v_cmpx_lt_i32_e64 v7, v4
	s_cbranch_execnz .LBB10_70
.LBB10_53:
	s_or_b32 exec_lo, exec_lo, s4
	s_mov_b32 s4, exec_lo
	v_cmpx_lt_i32_e64 v7, v4
	s_cbranch_execnz .LBB10_71
.LBB10_54:
	s_or_b32 exec_lo, exec_lo, s4
	s_mov_b32 s4, exec_lo
	v_cmpx_lt_i32_e64 v7, v4
	s_cbranch_execnz .LBB10_72
.LBB10_55:
	s_or_b32 exec_lo, exec_lo, s4
	s_waitcnt lgkmcnt(0)
	s_setpc_b64 s[30:31]
.LBB10_56:
	v_mul_f32_e64 v9, 0x3fb8aa3b, |v6|
	s_mov_b32 s8, exec_lo
	v_cmpx_ge_f32_e64 0x41000000, |v6|
	s_xor_b32 s8, exec_lo, s8
                                        ; implicit-def: $vgpr3
	s_cbranch_execz .LBB10_62
; %bb.57:
	v_fma_f32 v3, |v6|, 0.5, -2.0
	s_mov_b32 s5, 0x224cf950
	v_rndne_f32_e32 v14, v9
	v_fma_f32 v15, 0x3fb8aa3b, |v6|, -v9
	v_cmp_ngt_f32_e64 vcc_lo, 0xc2ce8ed0, |v6|
	v_fmaak_f32 v12, s5, v3, 0xa3c2be86
	v_cmp_nlt_f32_e64 s5, 0x42b17218, |v6|
	v_sub_f32_e32 v9, v9, v14
	v_fma_f32 v15, 0x32a5705f, |v6|, v15
	v_fmaak_f32 v13, v3, v12, 0xa24cf950
	v_add_f32_e32 v9, v9, v15
	v_add_f32_e32 v13, 0x25331f1f, v13
	v_exp_f32_e32 v9, v9
	v_fma_f32 v12, v3, v13, -v12
	v_add_f32_e32 v12, 0xa69f5554, v12
	v_fma_f32 v13, v3, v12, -v13
	v_add_f32_e32 v13, 0x2808ebf8, v13
	;; [unrolled: 2-line block ×25, first 2 shown]
	v_fma_f32 v3, v3, v12, -v13
	v_cvt_i32_f32_e32 v12, v14
	v_add_f32_e32 v3, 0x3e81531c, v3
	v_ldexp_f32 v9, v9, v12
	v_sub_f32_e32 v3, v3, v13
	v_cndmask_b32_e32 v12, 0, v9, vcc_lo
	v_cmp_ngt_f32_e32 vcc_lo, 0, v6
	v_mul_f32_e32 v3, 0.5, v3
	v_mul_f32_e64 v9, |v6|, v3
	v_cndmask_b32_e64 v6, 0x7f800000, v12, s5
	s_and_saveexec_b32 s5, vcc_lo
	s_xor_b32 s5, exec_lo, s5
                                        ; implicit-def: $vgpr3
; %bb.58:
	v_mul_f32_e32 v3, v6, v9
                                        ; implicit-def: $vgpr6
                                        ; implicit-def: $vgpr9
; %bb.59:
	s_andn2_saveexec_b32 s5, s5
; %bb.60:
	v_mul_f32_e64 v3, v9, -v6
; %bb.61:
	s_or_b32 exec_lo, exec_lo, s5
                                        ; implicit-def: $vgpr6
                                        ; implicit-def: $vgpr9
.LBB10_62:
	s_andn2_saveexec_b32 s8, s8
	s_cbranch_execz .LBB10_68
; %bb.63:
	v_and_b32_e32 v3, 0x7fffffff, v6
	s_mov_b32 s5, 0x230aab6e
	v_div_scale_f32 v12, null, v3, v3, 0x42000000
	v_div_scale_f32 v3, vcc_lo, 0x42000000, v3, 0x42000000
	v_rcp_f32_e32 v13, v12
	v_fma_f32 v14, -v12, v13, 1.0
	v_fmac_f32_e32 v13, v14, v13
	v_mul_f32_e32 v14, v3, v13
	v_fma_f32 v15, -v12, v14, v3
	v_fmac_f32_e32 v14, v15, v13
	v_fma_f32 v15, 0x3fb8aa3b, |v6|, -v9
	v_fma_f32 v3, -v12, v14, v3
	v_fma_f32 v15, 0x32a5705f, |v6|, v15
	v_div_fmas_f32 v3, v3, v13, v14
	v_rndne_f32_e32 v14, v9
	v_cmp_ngt_f32_e64 vcc_lo, 0xc2ce8ed0, |v6|
	v_div_fixup_f32 v3, v3, |v6|, 0x42000000
	v_sub_f32_e32 v9, v9, v14
	v_cvt_i32_f32_e32 v14, v14
	v_add_f32_e32 v3, -2.0, v3
	v_add_f32_e32 v9, v9, v15
	v_fmaak_f32 v12, s5, v3, 0x22a2dc57
	v_exp_f32_e32 v9, v9
	v_cmp_nlt_f32_e64 s5, 0x42b17218, |v6|
	v_fmaak_f32 v13, v3, v12, 0xa30aab6e
	v_add_f32_e32 v13, 0xa456751e, v13
	v_ldexp_f32 v9, v9, v14
	v_fma_f32 v12, v3, v13, -v12
	v_cndmask_b32_e32 v9, 0, v9, vcc_lo
	v_add_f32_e32 v12, 0xa4140365, v12
	v_cndmask_b32_e64 v9, 0x7f800000, v9, s5
	s_mov_b32 s5, exec_lo
	v_fma_f32 v13, v3, v12, -v13
	v_add_f32_e32 v13, 0x25aac8b0, v13
	v_fma_f32 v12, v3, v13, -v12
	v_add_f32_e32 v12, 0x25beb473, v12
	;; [unrolled: 2-line block ×21, first 2 shown]
	v_sub_f32_e32 v12, v3, v13
	v_mul_f32_e64 v13, 0x4f800000, |v6|
	v_cmpx_ngt_f32_e32 0, v6
	s_xor_b32 s9, exec_lo, s5
                                        ; implicit-def: $vgpr3
	s_cbranch_execz .LBB10_65
; %bb.64:
	v_cmp_gt_f32_e64 vcc_lo, 0xf800000, |v6|
	v_mul_f32_e32 v12, 0.5, v12
	v_cndmask_b32_e64 v3, |v6|, v13, vcc_lo
	v_mul_f32_e32 v9, v9, v12
	v_sqrt_f32_e32 v6, v3
	v_add_nc_u32_e32 v13, -1, v6
	v_add_nc_u32_e32 v14, 1, v6
	v_fma_f32 v15, -v13, v6, v3
	v_fma_f32 v16, -v14, v6, v3
	v_cmp_ge_f32_e64 s5, 0, v15
	v_cndmask_b32_e64 v6, v6, v13, s5
	v_cmp_lt_f32_e64 s5, 0, v16
	v_cndmask_b32_e64 v6, v6, v14, s5
	v_mul_f32_e32 v13, 0x37800000, v6
	v_cndmask_b32_e32 v6, v6, v13, vcc_lo
	v_cmp_class_f32_e64 vcc_lo, v3, 0x260
	v_cndmask_b32_e32 v3, v6, v3, vcc_lo
	v_div_scale_f32 v6, null, v3, v3, v9
	v_rcp_f32_e32 v12, v6
	v_fma_f32 v13, -v6, v12, 1.0
	v_fmac_f32_e32 v12, v13, v12
	v_div_scale_f32 v13, vcc_lo, v9, v3, v9
	v_mul_f32_e32 v14, v13, v12
	v_fma_f32 v15, -v6, v14, v13
	v_fmac_f32_e32 v14, v15, v12
	v_fma_f32 v6, -v6, v14, v13
                                        ; implicit-def: $vgpr13
	v_div_fmas_f32 v6, v6, v12, v14
                                        ; implicit-def: $vgpr12
	v_div_fixup_f32 v3, v6, v3, v9
                                        ; implicit-def: $vgpr6
                                        ; implicit-def: $vgpr9
.LBB10_65:
	s_andn2_saveexec_b32 s9, s9
	s_cbranch_execz .LBB10_67
; %bb.66:
	v_cmp_gt_f32_e64 vcc_lo, 0xf800000, |v6|
	v_mul_f32_e32 v12, -0.5, v12
	v_cndmask_b32_e64 v3, |v6|, v13, vcc_lo
	v_mul_f32_e32 v9, v9, v12
	v_sqrt_f32_e32 v6, v3
	v_add_nc_u32_e32 v13, -1, v6
	v_add_nc_u32_e32 v14, 1, v6
	v_fma_f32 v15, -v13, v6, v3
	v_fma_f32 v16, -v14, v6, v3
	v_cmp_ge_f32_e64 s5, 0, v15
	v_cndmask_b32_e64 v6, v6, v13, s5
	v_cmp_lt_f32_e64 s5, 0, v16
	v_cndmask_b32_e64 v6, v6, v14, s5
	v_mul_f32_e32 v13, 0x37800000, v6
	v_cndmask_b32_e32 v6, v6, v13, vcc_lo
	v_cmp_class_f32_e64 vcc_lo, v3, 0x260
	v_cndmask_b32_e32 v3, v6, v3, vcc_lo
	v_div_scale_f32 v6, null, v3, v3, v9
	v_rcp_f32_e32 v12, v6
	v_fma_f32 v13, -v6, v12, 1.0
	v_fmac_f32_e32 v12, v13, v12
	v_div_scale_f32 v13, vcc_lo, v9, v3, v9
	v_mul_f32_e32 v14, v13, v12
	v_fma_f32 v15, -v6, v14, v13
	v_fmac_f32_e32 v14, v15, v12
	v_fma_f32 v6, -v6, v14, v13
	v_div_fmas_f32 v6, v6, v12, v14
	v_div_fixup_f32 v3, v6, v3, v9
.LBB10_67:
	s_or_b32 exec_lo, exec_lo, s9
.LBB10_68:
	s_or_b32 exec_lo, exec_lo, s8
	s_or_b32 exec_lo, exec_lo, s7
	s_and_saveexec_b32 s5, s4
	s_xor_b32 s4, exec_lo, s5
	s_cbranch_execz .LBB10_52
.LBB10_69:
	v_mov_b32_e32 v6, 0
	v_mov_b32_e32 v7, v8
	v_lshlrev_b64 v[5:6], 2, v[5:6]
	v_add_co_u32 v5, vcc_lo, v0, v5
	v_add_co_ci_u32_e64 v6, null, v1, v6, vcc_lo
	flat_store_dword v[5:6], v2
	s_or_b32 exec_lo, exec_lo, s4
	s_mov_b32 s4, exec_lo
	v_cmpx_lt_i32_e64 v7, v4
	s_cbranch_execz .LBB10_53
.LBB10_70:
	v_add_nc_u32_e32 v5, s6, v7
	v_mov_b32_e32 v6, 0
	v_add_nc_u32_e32 v7, 0x100, v7
	v_lshlrev_b64 v[5:6], 2, v[5:6]
	v_add_co_u32 v5, vcc_lo, v0, v5
	v_add_co_ci_u32_e64 v6, null, v1, v6, vcc_lo
	flat_store_dword v[5:6], v11
	s_or_b32 exec_lo, exec_lo, s4
	s_mov_b32 s4, exec_lo
	v_cmpx_lt_i32_e64 v7, v4
	s_cbranch_execz .LBB10_54
.LBB10_71:
	v_add_nc_u32_e32 v5, s6, v7
	v_mov_b32_e32 v6, 0
	v_add_nc_u32_e32 v7, 0x100, v7
	v_lshlrev_b64 v[5:6], 2, v[5:6]
	v_add_co_u32 v5, vcc_lo, v0, v5
	v_add_co_ci_u32_e64 v6, null, v1, v6, vcc_lo
	flat_store_dword v[5:6], v10
	s_or_b32 exec_lo, exec_lo, s4
	s_mov_b32 s4, exec_lo
	v_cmpx_lt_i32_e64 v7, v4
	s_cbranch_execz .LBB10_55
.LBB10_72:
	v_add_nc_u32_e32 v4, s6, v7
	v_mov_b32_e32 v5, 0
	v_lshlrev_b64 v[4:5], 2, v[4:5]
	v_add_co_u32 v0, vcc_lo, v0, v4
	v_add_co_ci_u32_e64 v1, null, v1, v5, vcc_lo
	flat_store_dword v[0:1], v3
	s_or_b32 exec_lo, exec_lo, s4
	s_waitcnt lgkmcnt(0)
	s_setpc_b64 s[30:31]
.Lfunc_end10:
	.size	_ZN2at6native25elementwise_kernel_helperILb0EZZZNS0_12_GLOBAL__N_130modified_bessel_i1_kernel_cudaERNS_18TensorIteratorBaseEENKUlvE_clEvENKUlvE0_clEvEUlfE_NS0_6memory8policies11unroll_baseILi256ESt5arrayIPcLm2EE23TrivialOffsetCalculatorILi1EjESF_NS8_15LoadWithoutCastENS8_16StoreWithoutCastELi4ELi1EEEEEvT0_T1_, .Lfunc_end10-_ZN2at6native25elementwise_kernel_helperILb0EZZZNS0_12_GLOBAL__N_130modified_bessel_i1_kernel_cudaERNS_18TensorIteratorBaseEENKUlvE_clEvENKUlvE0_clEvEUlfE_NS0_6memory8policies11unroll_baseILi256ESt5arrayIPcLm2EE23TrivialOffsetCalculatorILi1EjESF_NS8_15LoadWithoutCastENS8_16StoreWithoutCastELi4ELi1EEEEEvT0_T1_
                                        ; -- End function
	.set .L_ZN2at6native25elementwise_kernel_helperILb0EZZZNS0_12_GLOBAL__N_130modified_bessel_i1_kernel_cudaERNS_18TensorIteratorBaseEENKUlvE_clEvENKUlvE0_clEvEUlfE_NS0_6memory8policies11unroll_baseILi256ESt5arrayIPcLm2EE23TrivialOffsetCalculatorILi1EjESF_NS8_15LoadWithoutCastENS8_16StoreWithoutCastELi4ELi1EEEEEvT0_T1_.num_vgpr, 32
	.set .L_ZN2at6native25elementwise_kernel_helperILb0EZZZNS0_12_GLOBAL__N_130modified_bessel_i1_kernel_cudaERNS_18TensorIteratorBaseEENKUlvE_clEvENKUlvE0_clEvEUlfE_NS0_6memory8policies11unroll_baseILi256ESt5arrayIPcLm2EE23TrivialOffsetCalculatorILi1EjESF_NS8_15LoadWithoutCastENS8_16StoreWithoutCastELi4ELi1EEEEEvT0_T1_.num_agpr, 0
	.set .L_ZN2at6native25elementwise_kernel_helperILb0EZZZNS0_12_GLOBAL__N_130modified_bessel_i1_kernel_cudaERNS_18TensorIteratorBaseEENKUlvE_clEvENKUlvE0_clEvEUlfE_NS0_6memory8policies11unroll_baseILi256ESt5arrayIPcLm2EE23TrivialOffsetCalculatorILi1EjESF_NS8_15LoadWithoutCastENS8_16StoreWithoutCastELi4ELi1EEEEEvT0_T1_.numbered_sgpr, 32
	.set .L_ZN2at6native25elementwise_kernel_helperILb0EZZZNS0_12_GLOBAL__N_130modified_bessel_i1_kernel_cudaERNS_18TensorIteratorBaseEENKUlvE_clEvENKUlvE0_clEvEUlfE_NS0_6memory8policies11unroll_baseILi256ESt5arrayIPcLm2EE23TrivialOffsetCalculatorILi1EjESF_NS8_15LoadWithoutCastENS8_16StoreWithoutCastELi4ELi1EEEEEvT0_T1_.num_named_barrier, 0
	.set .L_ZN2at6native25elementwise_kernel_helperILb0EZZZNS0_12_GLOBAL__N_130modified_bessel_i1_kernel_cudaERNS_18TensorIteratorBaseEENKUlvE_clEvENKUlvE0_clEvEUlfE_NS0_6memory8policies11unroll_baseILi256ESt5arrayIPcLm2EE23TrivialOffsetCalculatorILi1EjESF_NS8_15LoadWithoutCastENS8_16StoreWithoutCastELi4ELi1EEEEEvT0_T1_.private_seg_size, 0
	.set .L_ZN2at6native25elementwise_kernel_helperILb0EZZZNS0_12_GLOBAL__N_130modified_bessel_i1_kernel_cudaERNS_18TensorIteratorBaseEENKUlvE_clEvENKUlvE0_clEvEUlfE_NS0_6memory8policies11unroll_baseILi256ESt5arrayIPcLm2EE23TrivialOffsetCalculatorILi1EjESF_NS8_15LoadWithoutCastENS8_16StoreWithoutCastELi4ELi1EEEEEvT0_T1_.uses_vcc, 1
	.set .L_ZN2at6native25elementwise_kernel_helperILb0EZZZNS0_12_GLOBAL__N_130modified_bessel_i1_kernel_cudaERNS_18TensorIteratorBaseEENKUlvE_clEvENKUlvE0_clEvEUlfE_NS0_6memory8policies11unroll_baseILi256ESt5arrayIPcLm2EE23TrivialOffsetCalculatorILi1EjESF_NS8_15LoadWithoutCastENS8_16StoreWithoutCastELi4ELi1EEEEEvT0_T1_.uses_flat_scratch, 0
	.set .L_ZN2at6native25elementwise_kernel_helperILb0EZZZNS0_12_GLOBAL__N_130modified_bessel_i1_kernel_cudaERNS_18TensorIteratorBaseEENKUlvE_clEvENKUlvE0_clEvEUlfE_NS0_6memory8policies11unroll_baseILi256ESt5arrayIPcLm2EE23TrivialOffsetCalculatorILi1EjESF_NS8_15LoadWithoutCastENS8_16StoreWithoutCastELi4ELi1EEEEEvT0_T1_.has_dyn_sized_stack, 0
	.set .L_ZN2at6native25elementwise_kernel_helperILb0EZZZNS0_12_GLOBAL__N_130modified_bessel_i1_kernel_cudaERNS_18TensorIteratorBaseEENKUlvE_clEvENKUlvE0_clEvEUlfE_NS0_6memory8policies11unroll_baseILi256ESt5arrayIPcLm2EE23TrivialOffsetCalculatorILi1EjESF_NS8_15LoadWithoutCastENS8_16StoreWithoutCastELi4ELi1EEEEEvT0_T1_.has_recursion, 0
	.set .L_ZN2at6native25elementwise_kernel_helperILb0EZZZNS0_12_GLOBAL__N_130modified_bessel_i1_kernel_cudaERNS_18TensorIteratorBaseEENKUlvE_clEvENKUlvE0_clEvEUlfE_NS0_6memory8policies11unroll_baseILi256ESt5arrayIPcLm2EE23TrivialOffsetCalculatorILi1EjESF_NS8_15LoadWithoutCastENS8_16StoreWithoutCastELi4ELi1EEEEEvT0_T1_.has_indirect_call, 0
	.section	.AMDGPU.csdata,"",@progbits
; Function info:
; codeLenInByte = 7328
; TotalNumSgprs: 34
; NumVgprs: 32
; ScratchSize: 0
; MemoryBound: 0
	.text
	.p2align	2                               ; -- Begin function _ZN2at6native25elementwise_kernel_helperILb0EZZZNS0_12_GLOBAL__N_130modified_bessel_i1_kernel_cudaERNS_18TensorIteratorBaseEENKUlvE_clEvENKUlvE0_clEvEUlfE_NS0_6memory8policies10vectorizedILi4ESt5arrayIPcLm2EELi4EEEEEvT0_T1_
	.type	_ZN2at6native25elementwise_kernel_helperILb0EZZZNS0_12_GLOBAL__N_130modified_bessel_i1_kernel_cudaERNS_18TensorIteratorBaseEENKUlvE_clEvENKUlvE0_clEvEUlfE_NS0_6memory8policies10vectorizedILi4ESt5arrayIPcLm2EELi4EEEEEvT0_T1_,@function
_ZN2at6native25elementwise_kernel_helperILb0EZZZNS0_12_GLOBAL__N_130modified_bessel_i1_kernel_cudaERNS_18TensorIteratorBaseEENKUlvE_clEvENKUlvE0_clEvEUlfE_NS0_6memory8policies10vectorizedILi4ESt5arrayIPcLm2EELi4EEEEEvT0_T1_: ; @_ZN2at6native25elementwise_kernel_helperILb0EZZZNS0_12_GLOBAL__N_130modified_bessel_i1_kernel_cudaERNS_18TensorIteratorBaseEENKUlvE_clEvENKUlvE0_clEvEUlfE_NS0_6memory8policies10vectorizedILi4ESt5arrayIPcLm2EELi4EEEEEvT0_T1_
; %bb.0:
	s_waitcnt vmcnt(0) expcnt(0) lgkmcnt(0)
	s_lshl_b32 s4, s12, 10
	v_and_b32_e32 v4, 0x3ff, v31
	s_ashr_i32 s5, s4, 31
                                        ; implicit-def: $vgpr6
	s_lshl_b64 s[6:7], s[4:5], 2
	s_mov_b32 s5, exec_lo
	v_lshlrev_b32_e32 v10, 4, v4
	v_add_co_u32 v2, vcc_lo, v2, s6
	v_add_co_ci_u32_e64 v3, null, s7, v3, vcc_lo
	v_add_co_u32 v2, vcc_lo, v2, v10
	v_add_co_ci_u32_e64 v3, null, 0, v3, vcc_lo
	flat_load_dwordx4 v[2:5], v[2:3]
	s_waitcnt vmcnt(0) lgkmcnt(0)
	v_mul_f32_e64 v7, 0x3fb8aa3b, |v2|
	v_cmpx_ge_f32_e64 0x41000000, |v2|
	s_xor_b32 s5, exec_lo, s5
	s_cbranch_execz .LBB11_6
; %bb.1:
	v_fma_f32 v6, |v2|, 0.5, -2.0
	s_mov_b32 s4, 0x224cf950
	v_rndne_f32_e32 v11, v7
	v_fma_f32 v12, 0x3fb8aa3b, |v2|, -v7
	v_cmp_ngt_f32_e64 vcc_lo, 0xc2ce8ed0, |v2|
	v_fmaak_f32 v8, s4, v6, 0xa3c2be86
	v_cmp_nlt_f32_e64 s4, 0x42b17218, |v2|
	v_sub_f32_e32 v7, v7, v11
	v_fma_f32 v12, 0x32a5705f, |v2|, v12
	v_fmaak_f32 v9, v6, v8, 0xa24cf950
	v_add_f32_e32 v7, v7, v12
	v_add_f32_e32 v9, 0x25331f1f, v9
	v_exp_f32_e32 v7, v7
	v_fma_f32 v8, v6, v9, -v8
	v_add_f32_e32 v8, 0xa69f5554, v8
	v_fma_f32 v9, v6, v8, -v9
	v_add_f32_e32 v9, 0x2808ebf8, v9
	;; [unrolled: 2-line block ×25, first 2 shown]
	v_fma_f32 v6, v6, v8, -v9
	v_cvt_i32_f32_e32 v8, v11
	v_add_f32_e32 v6, 0x3e81531c, v6
	v_ldexp_f32 v7, v7, v8
	v_sub_f32_e32 v6, v6, v9
	v_cndmask_b32_e32 v8, 0, v7, vcc_lo
	v_mul_f32_e32 v6, 0.5, v6
	v_cndmask_b32_e64 v8, 0x7f800000, v8, s4
	s_mov_b32 s4, exec_lo
	v_mul_f32_e64 v7, |v2|, v6
                                        ; implicit-def: $vgpr6
	v_cmpx_ngt_f32_e32 0, v2
	s_xor_b32 s4, exec_lo, s4
; %bb.2:
	v_mul_f32_e32 v6, v8, v7
                                        ; implicit-def: $vgpr8
                                        ; implicit-def: $vgpr7
; %bb.3:
	s_andn2_saveexec_b32 s4, s4
; %bb.4:
	v_mul_f32_e64 v6, v7, -v8
; %bb.5:
	s_or_b32 exec_lo, exec_lo, s4
                                        ; implicit-def: $vgpr7
.LBB11_6:
	s_andn2_saveexec_b32 s5, s5
	s_cbranch_execz .LBB11_12
; %bb.7:
	v_and_b32_e32 v6, 0x7fffffff, v2
	s_mov_b32 s4, 0x230aab6e
	v_div_scale_f32 v8, null, v6, v6, 0x42000000
	v_div_scale_f32 v6, vcc_lo, 0x42000000, v6, 0x42000000
	v_rcp_f32_e32 v9, v8
	v_fma_f32 v11, -v8, v9, 1.0
	v_fmac_f32_e32 v9, v11, v9
	v_mul_f32_e32 v11, v6, v9
	v_fma_f32 v12, -v8, v11, v6
	v_fmac_f32_e32 v11, v12, v9
	v_fma_f32 v12, 0x3fb8aa3b, |v2|, -v7
	v_fma_f32 v6, -v8, v11, v6
	v_fma_f32 v12, 0x32a5705f, |v2|, v12
	v_div_fmas_f32 v6, v6, v9, v11
	v_rndne_f32_e32 v11, v7
	v_cmp_ngt_f32_e64 vcc_lo, 0xc2ce8ed0, |v2|
	v_div_fixup_f32 v6, v6, |v2|, 0x42000000
	v_sub_f32_e32 v7, v7, v11
	v_cvt_i32_f32_e32 v11, v11
	v_add_f32_e32 v6, -2.0, v6
	v_add_f32_e32 v7, v7, v12
	v_fmaak_f32 v8, s4, v6, 0x22a2dc57
	v_exp_f32_e32 v7, v7
	v_cmp_nlt_f32_e64 s4, 0x42b17218, |v2|
	v_fmaak_f32 v9, v6, v8, 0xa30aab6e
	v_add_f32_e32 v9, 0xa456751e, v9
	v_ldexp_f32 v7, v7, v11
	v_fma_f32 v8, v6, v9, -v8
	v_cndmask_b32_e32 v7, 0, v7, vcc_lo
	v_add_f32_e32 v8, 0xa4140365, v8
	v_cndmask_b32_e64 v7, 0x7f800000, v7, s4
	s_mov_b32 s4, exec_lo
	v_fma_f32 v9, v6, v8, -v9
	v_add_f32_e32 v9, 0x25aac8b0, v9
	v_fma_f32 v8, v6, v9, -v8
	v_add_f32_e32 v8, 0x25beb473, v8
	;; [unrolled: 2-line block ×21, first 2 shown]
	v_sub_f32_e32 v8, v6, v9
	v_mul_f32_e64 v9, 0x4f800000, |v2|
                                        ; implicit-def: $vgpr6
	v_cmpx_ngt_f32_e32 0, v2
	s_xor_b32 s8, exec_lo, s4
	s_cbranch_execz .LBB11_9
; %bb.8:
	v_cmp_gt_f32_e64 vcc_lo, 0xf800000, |v2|
	v_mul_f32_e32 v8, 0.5, v8
	v_cndmask_b32_e64 v6, |v2|, v9, vcc_lo
	v_mul_f32_e32 v7, v7, v8
	v_sqrt_f32_e32 v9, v6
	v_add_nc_u32_e32 v11, -1, v9
	v_add_nc_u32_e32 v12, 1, v9
	v_fma_f32 v13, -v11, v9, v6
	v_fma_f32 v14, -v12, v9, v6
	v_cmp_ge_f32_e64 s4, 0, v13
	v_cndmask_b32_e64 v9, v9, v11, s4
	v_cmp_lt_f32_e64 s4, 0, v14
	v_cndmask_b32_e64 v9, v9, v12, s4
	v_mul_f32_e32 v11, 0x37800000, v9
	v_cndmask_b32_e32 v9, v9, v11, vcc_lo
	v_cmp_class_f32_e64 vcc_lo, v6, 0x260
	v_cndmask_b32_e32 v6, v9, v6, vcc_lo
	v_div_scale_f32 v8, null, v6, v6, v7
	v_rcp_f32_e32 v9, v8
	v_fma_f32 v11, -v8, v9, 1.0
	v_fmac_f32_e32 v9, v11, v9
	v_div_scale_f32 v11, vcc_lo, v7, v6, v7
	v_mul_f32_e32 v12, v11, v9
	v_fma_f32 v13, -v8, v12, v11
	v_fmac_f32_e32 v12, v13, v9
	v_fma_f32 v8, -v8, v12, v11
	v_div_fmas_f32 v8, v8, v9, v12
                                        ; implicit-def: $vgpr9
	v_div_fixup_f32 v6, v8, v6, v7
                                        ; implicit-def: $vgpr8
                                        ; implicit-def: $vgpr7
.LBB11_9:
	s_andn2_saveexec_b32 s8, s8
	s_cbranch_execz .LBB11_11
; %bb.10:
	v_cmp_gt_f32_e64 vcc_lo, 0xf800000, |v2|
	v_mul_f32_e32 v8, -0.5, v8
	v_cndmask_b32_e64 v2, |v2|, v9, vcc_lo
	v_mul_f32_e32 v7, v7, v8
	v_sqrt_f32_e32 v6, v2
	v_add_nc_u32_e32 v9, -1, v6
	v_add_nc_u32_e32 v11, 1, v6
	v_fma_f32 v12, -v9, v6, v2
	v_fma_f32 v13, -v11, v6, v2
	v_cmp_ge_f32_e64 s4, 0, v12
	v_cndmask_b32_e64 v6, v6, v9, s4
	v_cmp_lt_f32_e64 s4, 0, v13
	v_cndmask_b32_e64 v6, v6, v11, s4
	v_mul_f32_e32 v9, 0x37800000, v6
	v_cndmask_b32_e32 v6, v6, v9, vcc_lo
	v_cmp_class_f32_e64 vcc_lo, v2, 0x260
	v_cndmask_b32_e32 v2, v6, v2, vcc_lo
	v_div_scale_f32 v6, null, v2, v2, v7
	v_rcp_f32_e32 v8, v6
	v_fma_f32 v9, -v6, v8, 1.0
	v_fmac_f32_e32 v8, v9, v8
	v_div_scale_f32 v9, vcc_lo, v7, v2, v7
	v_mul_f32_e32 v11, v9, v8
	v_fma_f32 v12, -v6, v11, v9
	v_fmac_f32_e32 v11, v12, v8
	v_fma_f32 v6, -v6, v11, v9
	v_div_fmas_f32 v6, v6, v8, v11
	v_div_fixup_f32 v6, v6, v2, v7
.LBB11_11:
	s_or_b32 exec_lo, exec_lo, s8
.LBB11_12:
	s_or_b32 exec_lo, exec_lo, s5
	v_mul_f32_e64 v2, 0x3fb8aa3b, |v3|
	s_mov_b32 s5, exec_lo
	v_cmpx_ge_f32_e64 0x41000000, |v3|
	s_xor_b32 s5, exec_lo, s5
	s_cbranch_execz .LBB11_18
; %bb.13:
	v_fma_f32 v7, |v3|, 0.5, -2.0
	s_mov_b32 s4, 0x224cf950
	v_rndne_f32_e32 v11, v2
	v_fma_f32 v12, 0x3fb8aa3b, |v3|, -v2
	v_cmp_ngt_f32_e64 vcc_lo, 0xc2ce8ed0, |v3|
	v_fmaak_f32 v8, s4, v7, 0xa3c2be86
	v_cmp_nlt_f32_e64 s4, 0x42b17218, |v3|
	v_sub_f32_e32 v2, v2, v11
	v_fma_f32 v12, 0x32a5705f, |v3|, v12
	v_fmaak_f32 v9, v7, v8, 0xa24cf950
	v_add_f32_e32 v2, v2, v12
	v_add_f32_e32 v9, 0x25331f1f, v9
	v_exp_f32_e32 v2, v2
	v_fma_f32 v8, v7, v9, -v8
	v_add_f32_e32 v8, 0xa69f5554, v8
	v_fma_f32 v9, v7, v8, -v9
	v_add_f32_e32 v9, 0x2808ebf8, v9
	;; [unrolled: 2-line block ×25, first 2 shown]
	v_fma_f32 v7, v7, v8, -v9
	v_cvt_i32_f32_e32 v8, v11
	v_add_f32_e32 v7, 0x3e81531c, v7
	v_ldexp_f32 v2, v2, v8
	v_sub_f32_e32 v7, v7, v9
	v_cndmask_b32_e32 v8, 0, v2, vcc_lo
	v_mul_f32_e32 v7, 0.5, v7
	v_cndmask_b32_e64 v8, 0x7f800000, v8, s4
	s_mov_b32 s4, exec_lo
	v_mul_f32_e64 v2, |v3|, v7
	v_cmpx_ngt_f32_e32 0, v3
	s_xor_b32 s4, exec_lo, s4
; %bb.14:
	v_mul_f32_e32 v7, v8, v2
                                        ; implicit-def: $vgpr8
                                        ; implicit-def: $vgpr2
; %bb.15:
	s_andn2_saveexec_b32 s4, s4
; %bb.16:
	v_mul_f32_e64 v7, v2, -v8
; %bb.17:
	s_or_b32 exec_lo, exec_lo, s4
                                        ; implicit-def: $vgpr2
.LBB11_18:
	s_andn2_saveexec_b32 s5, s5
	s_cbranch_execz .LBB11_24
; %bb.19:
	v_and_b32_e32 v7, 0x7fffffff, v3
	s_mov_b32 s4, 0x230aab6e
	v_div_scale_f32 v8, null, v7, v7, 0x42000000
	v_div_scale_f32 v7, vcc_lo, 0x42000000, v7, 0x42000000
	v_rcp_f32_e32 v9, v8
	v_fma_f32 v11, -v8, v9, 1.0
	v_fmac_f32_e32 v9, v11, v9
	v_mul_f32_e32 v11, v7, v9
	v_fma_f32 v12, -v8, v11, v7
	v_fmac_f32_e32 v11, v12, v9
	v_fma_f32 v12, 0x3fb8aa3b, |v3|, -v2
	v_fma_f32 v7, -v8, v11, v7
	v_fma_f32 v12, 0x32a5705f, |v3|, v12
	v_div_fmas_f32 v7, v7, v9, v11
	v_rndne_f32_e32 v11, v2
	v_cmp_ngt_f32_e64 vcc_lo, 0xc2ce8ed0, |v3|
	v_div_fixup_f32 v7, v7, |v3|, 0x42000000
	v_sub_f32_e32 v2, v2, v11
	v_cvt_i32_f32_e32 v11, v11
	v_add_f32_e32 v7, -2.0, v7
	v_add_f32_e32 v2, v2, v12
	v_fmaak_f32 v8, s4, v7, 0x22a2dc57
	v_exp_f32_e32 v2, v2
	v_cmp_nlt_f32_e64 s4, 0x42b17218, |v3|
	v_fmaak_f32 v9, v7, v8, 0xa30aab6e
	v_add_f32_e32 v9, 0xa456751e, v9
	v_ldexp_f32 v2, v2, v11
	v_fma_f32 v8, v7, v9, -v8
	v_cndmask_b32_e32 v2, 0, v2, vcc_lo
	v_add_f32_e32 v8, 0xa4140365, v8
	v_cndmask_b32_e64 v2, 0x7f800000, v2, s4
	s_mov_b32 s4, exec_lo
	v_fma_f32 v9, v7, v8, -v9
	v_add_f32_e32 v9, 0x25aac8b0, v9
	v_fma_f32 v8, v7, v9, -v8
	v_add_f32_e32 v8, 0x25beb473, v8
	;; [unrolled: 2-line block ×21, first 2 shown]
	v_sub_f32_e32 v8, v7, v9
	v_mul_f32_e64 v9, 0x4f800000, |v3|
	v_cmpx_ngt_f32_e32 0, v3
	s_xor_b32 s8, exec_lo, s4
	s_cbranch_execz .LBB11_21
; %bb.20:
	v_cmp_gt_f32_e64 vcc_lo, 0xf800000, |v3|
	v_mul_f32_e32 v8, 0.5, v8
	v_cndmask_b32_e64 v7, |v3|, v9, vcc_lo
	v_mul_f32_e32 v2, v2, v8
	v_sqrt_f32_e32 v9, v7
	v_add_nc_u32_e32 v11, -1, v9
	v_add_nc_u32_e32 v12, 1, v9
	v_fma_f32 v13, -v11, v9, v7
	v_fma_f32 v14, -v12, v9, v7
	v_cmp_ge_f32_e64 s4, 0, v13
	v_cndmask_b32_e64 v9, v9, v11, s4
	v_cmp_lt_f32_e64 s4, 0, v14
	v_cndmask_b32_e64 v9, v9, v12, s4
	v_mul_f32_e32 v11, 0x37800000, v9
	v_cndmask_b32_e32 v9, v9, v11, vcc_lo
	v_cmp_class_f32_e64 vcc_lo, v7, 0x260
	v_cndmask_b32_e32 v7, v9, v7, vcc_lo
	v_div_scale_f32 v8, null, v7, v7, v2
	v_rcp_f32_e32 v9, v8
	v_fma_f32 v11, -v8, v9, 1.0
	v_fmac_f32_e32 v9, v11, v9
	v_div_scale_f32 v11, vcc_lo, v2, v7, v2
	v_mul_f32_e32 v12, v11, v9
	v_fma_f32 v13, -v8, v12, v11
	v_fmac_f32_e32 v12, v13, v9
	v_fma_f32 v8, -v8, v12, v11
	v_div_fmas_f32 v8, v8, v9, v12
                                        ; implicit-def: $vgpr9
	v_div_fixup_f32 v7, v8, v7, v2
                                        ; implicit-def: $vgpr8
                                        ; implicit-def: $vgpr2
.LBB11_21:
	s_andn2_saveexec_b32 s8, s8
	s_cbranch_execz .LBB11_23
; %bb.22:
	v_cmp_gt_f32_e64 vcc_lo, 0xf800000, |v3|
	v_mul_f32_e32 v8, -0.5, v8
	v_cndmask_b32_e64 v3, |v3|, v9, vcc_lo
	v_mul_f32_e32 v2, v2, v8
	v_sqrt_f32_e32 v7, v3
	v_add_nc_u32_e32 v9, -1, v7
	v_add_nc_u32_e32 v11, 1, v7
	v_fma_f32 v12, -v9, v7, v3
	v_fma_f32 v13, -v11, v7, v3
	v_cmp_ge_f32_e64 s4, 0, v12
	v_cndmask_b32_e64 v7, v7, v9, s4
	v_cmp_lt_f32_e64 s4, 0, v13
	v_cndmask_b32_e64 v7, v7, v11, s4
	v_mul_f32_e32 v9, 0x37800000, v7
	v_cndmask_b32_e32 v7, v7, v9, vcc_lo
	v_cmp_class_f32_e64 vcc_lo, v3, 0x260
	v_cndmask_b32_e32 v3, v7, v3, vcc_lo
	v_div_scale_f32 v7, null, v3, v3, v2
	v_rcp_f32_e32 v8, v7
	v_fma_f32 v9, -v7, v8, 1.0
	v_fmac_f32_e32 v8, v9, v8
	v_div_scale_f32 v9, vcc_lo, v2, v3, v2
	v_mul_f32_e32 v11, v9, v8
	v_fma_f32 v12, -v7, v11, v9
	v_fmac_f32_e32 v11, v12, v8
	v_fma_f32 v7, -v7, v11, v9
	v_div_fmas_f32 v7, v7, v8, v11
	v_div_fixup_f32 v7, v7, v3, v2
.LBB11_23:
	s_or_b32 exec_lo, exec_lo, s8
.LBB11_24:
	s_or_b32 exec_lo, exec_lo, s5
	v_mul_f32_e64 v2, 0x3fb8aa3b, |v4|
	s_mov_b32 s5, exec_lo
	v_cmpx_ge_f32_e64 0x41000000, |v4|
	s_xor_b32 s5, exec_lo, s5
	s_cbranch_execz .LBB11_30
; %bb.25:
	v_fma_f32 v3, |v4|, 0.5, -2.0
	s_mov_b32 s4, 0x224cf950
	v_rndne_f32_e32 v11, v2
	v_fma_f32 v12, 0x3fb8aa3b, |v4|, -v2
	v_cmp_ngt_f32_e64 vcc_lo, 0xc2ce8ed0, |v4|
	v_fmaak_f32 v8, s4, v3, 0xa3c2be86
	v_cmp_nlt_f32_e64 s4, 0x42b17218, |v4|
	v_sub_f32_e32 v2, v2, v11
	v_fma_f32 v12, 0x32a5705f, |v4|, v12
	v_fmaak_f32 v9, v3, v8, 0xa24cf950
	v_add_f32_e32 v2, v2, v12
	v_add_f32_e32 v9, 0x25331f1f, v9
	v_exp_f32_e32 v2, v2
	v_fma_f32 v8, v3, v9, -v8
	v_add_f32_e32 v8, 0xa69f5554, v8
	v_fma_f32 v9, v3, v8, -v9
	v_add_f32_e32 v9, 0x2808ebf8, v9
	;; [unrolled: 2-line block ×25, first 2 shown]
	v_fma_f32 v3, v3, v8, -v9
	v_cvt_i32_f32_e32 v8, v11
	v_add_f32_e32 v3, 0x3e81531c, v3
	v_ldexp_f32 v2, v2, v8
	v_sub_f32_e32 v3, v3, v9
	v_cndmask_b32_e32 v8, 0, v2, vcc_lo
	v_mul_f32_e32 v3, 0.5, v3
	v_mul_f32_e64 v2, |v4|, v3
	v_cndmask_b32_e64 v3, 0x7f800000, v8, s4
	s_mov_b32 s4, exec_lo
	v_cmpx_ngt_f32_e32 0, v4
	s_xor_b32 s4, exec_lo, s4
; %bb.26:
	v_mul_f32_e32 v8, v3, v2
                                        ; implicit-def: $vgpr3
                                        ; implicit-def: $vgpr2
; %bb.27:
	s_andn2_saveexec_b32 s4, s4
; %bb.28:
	v_mul_f32_e64 v8, v2, -v3
; %bb.29:
	s_or_b32 exec_lo, exec_lo, s4
                                        ; implicit-def: $vgpr2
.LBB11_30:
	s_andn2_saveexec_b32 s5, s5
	s_cbranch_execz .LBB11_36
; %bb.31:
	v_and_b32_e32 v3, 0x7fffffff, v4
	s_mov_b32 s4, 0x230aab6e
	v_div_scale_f32 v8, null, v3, v3, 0x42000000
	v_div_scale_f32 v3, vcc_lo, 0x42000000, v3, 0x42000000
	v_rcp_f32_e32 v9, v8
	v_fma_f32 v11, -v8, v9, 1.0
	v_fmac_f32_e32 v9, v11, v9
	v_mul_f32_e32 v11, v3, v9
	v_fma_f32 v12, -v8, v11, v3
	v_fmac_f32_e32 v11, v12, v9
	v_fma_f32 v12, 0x3fb8aa3b, |v4|, -v2
	v_fma_f32 v3, -v8, v11, v3
	v_fma_f32 v12, 0x32a5705f, |v4|, v12
	v_div_fmas_f32 v3, v3, v9, v11
	v_rndne_f32_e32 v11, v2
	v_cmp_ngt_f32_e64 vcc_lo, 0xc2ce8ed0, |v4|
	v_div_fixup_f32 v3, v3, |v4|, 0x42000000
	v_sub_f32_e32 v2, v2, v11
	v_cvt_i32_f32_e32 v11, v11
	v_add_f32_e32 v3, -2.0, v3
	v_add_f32_e32 v2, v2, v12
	v_fmaak_f32 v8, s4, v3, 0x22a2dc57
	v_exp_f32_e32 v2, v2
	v_cmp_nlt_f32_e64 s4, 0x42b17218, |v4|
	v_fmaak_f32 v9, v3, v8, 0xa30aab6e
	v_add_f32_e32 v9, 0xa456751e, v9
	v_ldexp_f32 v2, v2, v11
	v_fma_f32 v8, v3, v9, -v8
	v_cndmask_b32_e32 v2, 0, v2, vcc_lo
	v_add_f32_e32 v8, 0xa4140365, v8
	v_cndmask_b32_e64 v2, 0x7f800000, v2, s4
	s_mov_b32 s4, exec_lo
	v_fma_f32 v9, v3, v8, -v9
	v_add_f32_e32 v9, 0x25aac8b0, v9
	v_fma_f32 v8, v3, v9, -v8
	v_add_f32_e32 v8, 0x25beb473, v8
	;; [unrolled: 2-line block ×21, first 2 shown]
	v_sub_f32_e32 v3, v3, v9
	v_mul_f32_e64 v9, 0x4f800000, |v4|
	v_cmpx_ngt_f32_e32 0, v4
	s_xor_b32 s8, exec_lo, s4
	s_cbranch_execz .LBB11_33
; %bb.32:
	v_cmp_gt_f32_e64 vcc_lo, 0xf800000, |v4|
	v_mul_f32_e32 v3, 0.5, v3
	v_cndmask_b32_e64 v8, |v4|, v9, vcc_lo
	v_mul_f32_e32 v2, v2, v3
	v_sqrt_f32_e32 v9, v8
	v_add_nc_u32_e32 v11, -1, v9
	v_add_nc_u32_e32 v12, 1, v9
	v_fma_f32 v13, -v11, v9, v8
	v_fma_f32 v14, -v12, v9, v8
	v_cmp_ge_f32_e64 s4, 0, v13
	v_cndmask_b32_e64 v9, v9, v11, s4
	v_cmp_lt_f32_e64 s4, 0, v14
	v_cndmask_b32_e64 v9, v9, v12, s4
	v_mul_f32_e32 v11, 0x37800000, v9
	v_cndmask_b32_e32 v9, v9, v11, vcc_lo
	v_cmp_class_f32_e64 vcc_lo, v8, 0x260
	v_cndmask_b32_e32 v3, v9, v8, vcc_lo
	v_div_scale_f32 v8, null, v3, v3, v2
	v_rcp_f32_e32 v9, v8
	v_fma_f32 v11, -v8, v9, 1.0
	v_fmac_f32_e32 v9, v11, v9
	v_div_scale_f32 v11, vcc_lo, v2, v3, v2
	v_mul_f32_e32 v12, v11, v9
	v_fma_f32 v13, -v8, v12, v11
	v_fmac_f32_e32 v12, v13, v9
	v_fma_f32 v8, -v8, v12, v11
	v_div_fmas_f32 v8, v8, v9, v12
                                        ; implicit-def: $vgpr9
	v_div_fixup_f32 v8, v8, v3, v2
                                        ; implicit-def: $vgpr3
                                        ; implicit-def: $vgpr2
.LBB11_33:
	s_andn2_saveexec_b32 s8, s8
	s_cbranch_execz .LBB11_35
; %bb.34:
	v_cmp_gt_f32_e64 vcc_lo, 0xf800000, |v4|
	v_mul_f32_e32 v3, -0.5, v3
	v_cndmask_b32_e64 v4, |v4|, v9, vcc_lo
	v_mul_f32_e32 v2, v2, v3
	v_sqrt_f32_e32 v8, v4
	v_add_nc_u32_e32 v9, -1, v8
	v_add_nc_u32_e32 v11, 1, v8
	v_fma_f32 v12, -v9, v8, v4
	v_fma_f32 v13, -v11, v8, v4
	v_cmp_ge_f32_e64 s4, 0, v12
	v_cndmask_b32_e64 v8, v8, v9, s4
	v_cmp_lt_f32_e64 s4, 0, v13
	v_cndmask_b32_e64 v8, v8, v11, s4
	v_mul_f32_e32 v9, 0x37800000, v8
	v_cndmask_b32_e32 v8, v8, v9, vcc_lo
	v_cmp_class_f32_e64 vcc_lo, v4, 0x260
	v_cndmask_b32_e32 v3, v8, v4, vcc_lo
	v_div_scale_f32 v4, null, v3, v3, v2
	v_rcp_f32_e32 v8, v4
	v_fma_f32 v9, -v4, v8, 1.0
	v_fmac_f32_e32 v8, v9, v8
	v_div_scale_f32 v9, vcc_lo, v2, v3, v2
	v_mul_f32_e32 v11, v9, v8
	v_fma_f32 v12, -v4, v11, v9
	v_fmac_f32_e32 v11, v12, v8
	v_fma_f32 v4, -v4, v11, v9
	v_div_fmas_f32 v4, v4, v8, v11
	v_div_fixup_f32 v8, v4, v3, v2
.LBB11_35:
	s_or_b32 exec_lo, exec_lo, s8
.LBB11_36:
	s_or_b32 exec_lo, exec_lo, s5
	v_mul_f32_e64 v2, 0x3fb8aa3b, |v5|
	s_mov_b32 s5, exec_lo
	v_cmpx_ge_f32_e64 0x41000000, |v5|
	s_xor_b32 s5, exec_lo, s5
	s_cbranch_execz .LBB11_42
; %bb.37:
	v_fma_f32 v3, |v5|, 0.5, -2.0
	s_mov_b32 s4, 0x224cf950
	v_rndne_f32_e32 v11, v2
	v_fma_f32 v12, 0x3fb8aa3b, |v5|, -v2
	v_cmp_ngt_f32_e64 vcc_lo, 0xc2ce8ed0, |v5|
	v_fmaak_f32 v4, s4, v3, 0xa3c2be86
	v_cmp_nlt_f32_e64 s4, 0x42b17218, |v5|
	v_sub_f32_e32 v2, v2, v11
	v_fma_f32 v12, 0x32a5705f, |v5|, v12
	v_fmaak_f32 v9, v3, v4, 0xa24cf950
	v_add_f32_e32 v2, v2, v12
	v_add_f32_e32 v9, 0x25331f1f, v9
	v_exp_f32_e32 v2, v2
	v_fma_f32 v4, v3, v9, -v4
	v_add_f32_e32 v4, 0xa69f5554, v4
	v_fma_f32 v9, v3, v4, -v9
	v_add_f32_e32 v9, 0x2808ebf8, v9
	;; [unrolled: 2-line block ×25, first 2 shown]
	v_fma_f32 v3, v3, v4, -v9
	v_cvt_i32_f32_e32 v4, v11
	v_add_f32_e32 v3, 0x3e81531c, v3
	v_ldexp_f32 v2, v2, v4
	v_sub_f32_e32 v3, v3, v9
	v_cndmask_b32_e32 v4, 0, v2, vcc_lo
	v_mul_f32_e32 v3, 0.5, v3
	v_mul_f32_e64 v2, |v5|, v3
	v_cndmask_b32_e64 v3, 0x7f800000, v4, s4
	s_mov_b32 s4, exec_lo
	v_cmpx_ngt_f32_e32 0, v5
	s_xor_b32 s4, exec_lo, s4
; %bb.38:
	v_mul_f32_e32 v9, v3, v2
                                        ; implicit-def: $vgpr3
                                        ; implicit-def: $vgpr2
; %bb.39:
	s_andn2_saveexec_b32 s4, s4
; %bb.40:
	v_mul_f32_e64 v9, v2, -v3
; %bb.41:
	s_or_b32 exec_lo, exec_lo, s4
                                        ; implicit-def: $vgpr2_vgpr3_vgpr4_vgpr5
                                        ; implicit-def: $vgpr2
.LBB11_42:
	s_andn2_saveexec_b32 s5, s5
	s_cbranch_execz .LBB11_48
; %bb.43:
	v_and_b32_e32 v3, 0x7fffffff, v5
	s_mov_b32 s4, 0x230aab6e
	v_div_scale_f32 v4, null, v3, v3, 0x42000000
	v_div_scale_f32 v3, vcc_lo, 0x42000000, v3, 0x42000000
	v_rcp_f32_e32 v9, v4
	v_fma_f32 v11, -v4, v9, 1.0
	v_fmac_f32_e32 v9, v11, v9
	v_mul_f32_e32 v11, v3, v9
	v_fma_f32 v12, -v4, v11, v3
	v_fmac_f32_e32 v11, v12, v9
	v_fma_f32 v12, 0x3fb8aa3b, |v5|, -v2
	v_fma_f32 v3, -v4, v11, v3
	v_fma_f32 v12, 0x32a5705f, |v5|, v12
	v_div_fmas_f32 v3, v3, v9, v11
	v_rndne_f32_e32 v11, v2
	v_cmp_ngt_f32_e64 vcc_lo, 0xc2ce8ed0, |v5|
	v_div_fixup_f32 v3, v3, |v5|, 0x42000000
	v_sub_f32_e32 v2, v2, v11
	v_cvt_i32_f32_e32 v11, v11
	v_add_f32_e32 v3, -2.0, v3
	v_add_f32_e32 v2, v2, v12
	v_fmaak_f32 v4, s4, v3, 0x22a2dc57
	v_exp_f32_e32 v2, v2
	v_cmp_nlt_f32_e64 s4, 0x42b17218, |v5|
	v_fmaak_f32 v9, v3, v4, 0xa30aab6e
	v_add_f32_e32 v9, 0xa456751e, v9
	v_ldexp_f32 v2, v2, v11
	v_fma_f32 v4, v3, v9, -v4
	v_cndmask_b32_e32 v2, 0, v2, vcc_lo
	v_add_f32_e32 v4, 0xa4140365, v4
	v_cndmask_b32_e64 v2, 0x7f800000, v2, s4
	s_mov_b32 s4, exec_lo
	v_fma_f32 v9, v3, v4, -v9
	v_add_f32_e32 v9, 0x25aac8b0, v9
	v_fma_f32 v4, v3, v9, -v4
	v_add_f32_e32 v4, 0x25beb473, v4
	;; [unrolled: 2-line block ×20, first 2 shown]
	v_fma_f32 v3, v3, v4, -v9
	v_mul_f32_e64 v4, 0x4f800000, |v5|
	v_add_f32_e32 v3, 0x3f4750c6, v3
	v_sub_f32_e32 v3, v3, v9
	v_cmpx_ngt_f32_e32 0, v5
	s_xor_b32 s8, exec_lo, s4
	s_cbranch_execz .LBB11_45
; %bb.44:
	v_cmp_gt_f32_e64 vcc_lo, 0xf800000, |v5|
	v_mul_f32_e32 v3, 0.5, v3
	v_cndmask_b32_e64 v4, |v5|, v4, vcc_lo
	v_mul_f32_e32 v2, v2, v3
	v_sqrt_f32_e32 v5, v4
	v_add_nc_u32_e32 v9, -1, v5
	v_add_nc_u32_e32 v11, 1, v5
	v_fma_f32 v12, -v9, v5, v4
	v_fma_f32 v13, -v11, v5, v4
	v_cmp_ge_f32_e64 s4, 0, v12
	v_cndmask_b32_e64 v5, v5, v9, s4
	v_cmp_lt_f32_e64 s4, 0, v13
	v_cndmask_b32_e64 v5, v5, v11, s4
	v_mul_f32_e32 v9, 0x37800000, v5
	v_cndmask_b32_e32 v5, v5, v9, vcc_lo
	v_cmp_class_f32_e64 vcc_lo, v4, 0x260
	v_cndmask_b32_e32 v3, v5, v4, vcc_lo
	v_div_scale_f32 v4, null, v3, v3, v2
	v_rcp_f32_e32 v5, v4
	v_fma_f32 v9, -v4, v5, 1.0
	v_fmac_f32_e32 v5, v9, v5
	v_div_scale_f32 v9, vcc_lo, v2, v3, v2
	v_mul_f32_e32 v11, v9, v5
	v_fma_f32 v12, -v4, v11, v9
	v_fmac_f32_e32 v11, v12, v5
	v_fma_f32 v4, -v4, v11, v9
	v_div_fmas_f32 v4, v4, v5, v11
	v_div_fixup_f32 v9, v4, v3, v2
                                        ; implicit-def: $vgpr2_vgpr3_vgpr4_vgpr5
                                        ; implicit-def: $vgpr4
                                        ; implicit-def: $vgpr3
                                        ; implicit-def: $vgpr2
.LBB11_45:
	s_andn2_saveexec_b32 s8, s8
	s_cbranch_execz .LBB11_47
; %bb.46:
	v_cmp_gt_f32_e64 vcc_lo, 0xf800000, |v5|
	v_mul_f32_e32 v3, -0.5, v3
	v_cndmask_b32_e64 v4, |v5|, v4, vcc_lo
	v_mul_f32_e32 v2, v2, v3
	v_sqrt_f32_e32 v5, v4
	v_add_nc_u32_e32 v9, -1, v5
	v_add_nc_u32_e32 v11, 1, v5
	v_fma_f32 v12, -v9, v5, v4
	v_fma_f32 v13, -v11, v5, v4
	v_cmp_ge_f32_e64 s4, 0, v12
	v_cndmask_b32_e64 v5, v5, v9, s4
	v_cmp_lt_f32_e64 s4, 0, v13
	v_cndmask_b32_e64 v5, v5, v11, s4
	v_mul_f32_e32 v9, 0x37800000, v5
	v_cndmask_b32_e32 v5, v5, v9, vcc_lo
	v_cmp_class_f32_e64 vcc_lo, v4, 0x260
	v_cndmask_b32_e32 v3, v5, v4, vcc_lo
	v_div_scale_f32 v4, null, v3, v3, v2
	v_rcp_f32_e32 v5, v4
	v_fma_f32 v9, -v4, v5, 1.0
	v_fmac_f32_e32 v5, v9, v5
	v_div_scale_f32 v9, vcc_lo, v2, v3, v2
	v_mul_f32_e32 v11, v9, v5
	v_fma_f32 v12, -v4, v11, v9
	v_fmac_f32_e32 v11, v12, v5
	v_fma_f32 v4, -v4, v11, v9
	v_div_fmas_f32 v4, v4, v5, v11
	v_div_fixup_f32 v9, v4, v3, v2
.LBB11_47:
	s_or_b32 exec_lo, exec_lo, s8
.LBB11_48:
	s_or_b32 exec_lo, exec_lo, s5
	v_add_co_u32 v0, vcc_lo, v0, s6
	v_add_co_ci_u32_e64 v1, null, s7, v1, vcc_lo
	v_add_co_u32 v0, vcc_lo, v0, v10
	v_add_co_ci_u32_e64 v1, null, 0, v1, vcc_lo
	flat_store_dwordx4 v[0:1], v[6:9]
	s_waitcnt lgkmcnt(0)
	s_setpc_b64 s[30:31]
.Lfunc_end11:
	.size	_ZN2at6native25elementwise_kernel_helperILb0EZZZNS0_12_GLOBAL__N_130modified_bessel_i1_kernel_cudaERNS_18TensorIteratorBaseEENKUlvE_clEvENKUlvE0_clEvEUlfE_NS0_6memory8policies10vectorizedILi4ESt5arrayIPcLm2EELi4EEEEEvT0_T1_, .Lfunc_end11-_ZN2at6native25elementwise_kernel_helperILb0EZZZNS0_12_GLOBAL__N_130modified_bessel_i1_kernel_cudaERNS_18TensorIteratorBaseEENKUlvE_clEvENKUlvE0_clEvEUlfE_NS0_6memory8policies10vectorizedILi4ESt5arrayIPcLm2EELi4EEEEEvT0_T1_
                                        ; -- End function
	.set .L_ZN2at6native25elementwise_kernel_helperILb0EZZZNS0_12_GLOBAL__N_130modified_bessel_i1_kernel_cudaERNS_18TensorIteratorBaseEENKUlvE_clEvENKUlvE0_clEvEUlfE_NS0_6memory8policies10vectorizedILi4ESt5arrayIPcLm2EELi4EEEEEvT0_T1_.num_vgpr, 32
	.set .L_ZN2at6native25elementwise_kernel_helperILb0EZZZNS0_12_GLOBAL__N_130modified_bessel_i1_kernel_cudaERNS_18TensorIteratorBaseEENKUlvE_clEvENKUlvE0_clEvEUlfE_NS0_6memory8policies10vectorizedILi4ESt5arrayIPcLm2EELi4EEEEEvT0_T1_.num_agpr, 0
	.set .L_ZN2at6native25elementwise_kernel_helperILb0EZZZNS0_12_GLOBAL__N_130modified_bessel_i1_kernel_cudaERNS_18TensorIteratorBaseEENKUlvE_clEvENKUlvE0_clEvEUlfE_NS0_6memory8policies10vectorizedILi4ESt5arrayIPcLm2EELi4EEEEEvT0_T1_.numbered_sgpr, 32
	.set .L_ZN2at6native25elementwise_kernel_helperILb0EZZZNS0_12_GLOBAL__N_130modified_bessel_i1_kernel_cudaERNS_18TensorIteratorBaseEENKUlvE_clEvENKUlvE0_clEvEUlfE_NS0_6memory8policies10vectorizedILi4ESt5arrayIPcLm2EELi4EEEEEvT0_T1_.num_named_barrier, 0
	.set .L_ZN2at6native25elementwise_kernel_helperILb0EZZZNS0_12_GLOBAL__N_130modified_bessel_i1_kernel_cudaERNS_18TensorIteratorBaseEENKUlvE_clEvENKUlvE0_clEvEUlfE_NS0_6memory8policies10vectorizedILi4ESt5arrayIPcLm2EELi4EEEEEvT0_T1_.private_seg_size, 0
	.set .L_ZN2at6native25elementwise_kernel_helperILb0EZZZNS0_12_GLOBAL__N_130modified_bessel_i1_kernel_cudaERNS_18TensorIteratorBaseEENKUlvE_clEvENKUlvE0_clEvEUlfE_NS0_6memory8policies10vectorizedILi4ESt5arrayIPcLm2EELi4EEEEEvT0_T1_.uses_vcc, 1
	.set .L_ZN2at6native25elementwise_kernel_helperILb0EZZZNS0_12_GLOBAL__N_130modified_bessel_i1_kernel_cudaERNS_18TensorIteratorBaseEENKUlvE_clEvENKUlvE0_clEvEUlfE_NS0_6memory8policies10vectorizedILi4ESt5arrayIPcLm2EELi4EEEEEvT0_T1_.uses_flat_scratch, 0
	.set .L_ZN2at6native25elementwise_kernel_helperILb0EZZZNS0_12_GLOBAL__N_130modified_bessel_i1_kernel_cudaERNS_18TensorIteratorBaseEENKUlvE_clEvENKUlvE0_clEvEUlfE_NS0_6memory8policies10vectorizedILi4ESt5arrayIPcLm2EELi4EEEEEvT0_T1_.has_dyn_sized_stack, 0
	.set .L_ZN2at6native25elementwise_kernel_helperILb0EZZZNS0_12_GLOBAL__N_130modified_bessel_i1_kernel_cudaERNS_18TensorIteratorBaseEENKUlvE_clEvENKUlvE0_clEvEUlfE_NS0_6memory8policies10vectorizedILi4ESt5arrayIPcLm2EELi4EEEEEvT0_T1_.has_recursion, 0
	.set .L_ZN2at6native25elementwise_kernel_helperILb0EZZZNS0_12_GLOBAL__N_130modified_bessel_i1_kernel_cudaERNS_18TensorIteratorBaseEENKUlvE_clEvENKUlvE0_clEvEUlfE_NS0_6memory8policies10vectorizedILi4ESt5arrayIPcLm2EELi4EEEEEvT0_T1_.has_indirect_call, 0
	.section	.AMDGPU.csdata,"",@progbits
; Function info:
; codeLenInByte = 6664
; TotalNumSgprs: 34
; NumVgprs: 32
; ScratchSize: 0
; MemoryBound: 0
	.section	.text._ZN2at6native29vectorized_elementwise_kernelILi16EZZZNS0_12_GLOBAL__N_130modified_bessel_i1_kernel_cudaERNS_18TensorIteratorBaseEENKUlvE_clEvENKUlvE0_clEvEUlfE_St5arrayIPcLm2EEEEviT0_T1_,"axG",@progbits,_ZN2at6native29vectorized_elementwise_kernelILi16EZZZNS0_12_GLOBAL__N_130modified_bessel_i1_kernel_cudaERNS_18TensorIteratorBaseEENKUlvE_clEvENKUlvE0_clEvEUlfE_St5arrayIPcLm2EEEEviT0_T1_,comdat
	.globl	_ZN2at6native29vectorized_elementwise_kernelILi16EZZZNS0_12_GLOBAL__N_130modified_bessel_i1_kernel_cudaERNS_18TensorIteratorBaseEENKUlvE_clEvENKUlvE0_clEvEUlfE_St5arrayIPcLm2EEEEviT0_T1_ ; -- Begin function _ZN2at6native29vectorized_elementwise_kernelILi16EZZZNS0_12_GLOBAL__N_130modified_bessel_i1_kernel_cudaERNS_18TensorIteratorBaseEENKUlvE_clEvENKUlvE0_clEvEUlfE_St5arrayIPcLm2EEEEviT0_T1_
	.p2align	8
	.type	_ZN2at6native29vectorized_elementwise_kernelILi16EZZZNS0_12_GLOBAL__N_130modified_bessel_i1_kernel_cudaERNS_18TensorIteratorBaseEENKUlvE_clEvENKUlvE0_clEvEUlfE_St5arrayIPcLm2EEEEviT0_T1_,@function
_ZN2at6native29vectorized_elementwise_kernelILi16EZZZNS0_12_GLOBAL__N_130modified_bessel_i1_kernel_cudaERNS_18TensorIteratorBaseEENKUlvE_clEvENKUlvE0_clEvEUlfE_St5arrayIPcLm2EEEEviT0_T1_: ; @_ZN2at6native29vectorized_elementwise_kernelILi16EZZZNS0_12_GLOBAL__N_130modified_bessel_i1_kernel_cudaERNS_18TensorIteratorBaseEENKUlvE_clEvENKUlvE0_clEvEUlfE_St5arrayIPcLm2EEEEviT0_T1_
; %bb.0:
	s_mov_b32 s12, s6
	s_clause 0x1
	s_load_dword s6, s[4:5], 0x0
	s_load_dwordx4 s[16:19], s[4:5], 0x8
	s_add_u32 s0, s0, s7
	s_addc_u32 s1, s1, 0
	s_lshl_b32 s4, s12, 10
	v_mov_b32_e32 v31, v0
	s_mov_b32 s32, 0
	s_waitcnt lgkmcnt(0)
	s_sub_i32 s9, s6, s4
	s_mov_b32 s4, -1
	s_cmpk_gt_i32 s9, 0x3ff
	s_cbranch_scc1 .LBB12_3
; %bb.1:
	s_andn2_b32 vcc_lo, exec_lo, s4
	s_cbranch_vccz .LBB12_4
.LBB12_2:
	s_endpgm
.LBB12_3:
	v_mov_b32_e32 v0, s16
	v_mov_b32_e32 v1, s17
	;; [unrolled: 1-line block ×4, first 2 shown]
	s_getpc_b64 s[4:5]
	s_add_u32 s4, s4, _ZN2at6native25elementwise_kernel_helperILb0EZZZNS0_12_GLOBAL__N_130modified_bessel_i1_kernel_cudaERNS_18TensorIteratorBaseEENKUlvE_clEvENKUlvE0_clEvEUlfE_NS0_6memory8policies10vectorizedILi4ESt5arrayIPcLm2EELi4EEEEEvT0_T1_@rel32@lo+4
	s_addc_u32 s5, s5, _ZN2at6native25elementwise_kernel_helperILb0EZZZNS0_12_GLOBAL__N_130modified_bessel_i1_kernel_cudaERNS_18TensorIteratorBaseEENKUlvE_clEvENKUlvE0_clEvEUlfE_NS0_6memory8policies10vectorizedILi4ESt5arrayIPcLm2EELi4EEEEEvT0_T1_@rel32@hi+12
	s_swappc_b64 s[30:31], s[4:5]
	s_cbranch_execnz .LBB12_2
.LBB12_4:
	v_mov_b32_e32 v0, s16
	v_mov_b32_e32 v1, s17
	;; [unrolled: 1-line block ×5, first 2 shown]
	s_getpc_b64 s[4:5]
	s_add_u32 s4, s4, _ZN2at6native25elementwise_kernel_helperILb0EZZZNS0_12_GLOBAL__N_130modified_bessel_i1_kernel_cudaERNS_18TensorIteratorBaseEENKUlvE_clEvENKUlvE0_clEvEUlfE_NS0_6memory8policies11unroll_baseILi256ESt5arrayIPcLm2EE23TrivialOffsetCalculatorILi1EjESF_NS8_15LoadWithoutCastENS8_16StoreWithoutCastELi4ELi1EEEEEvT0_T1_@rel32@lo+4
	s_addc_u32 s5, s5, _ZN2at6native25elementwise_kernel_helperILb0EZZZNS0_12_GLOBAL__N_130modified_bessel_i1_kernel_cudaERNS_18TensorIteratorBaseEENKUlvE_clEvENKUlvE0_clEvEUlfE_NS0_6memory8policies11unroll_baseILi256ESt5arrayIPcLm2EE23TrivialOffsetCalculatorILi1EjESF_NS8_15LoadWithoutCastENS8_16StoreWithoutCastELi4ELi1EEEEEvT0_T1_@rel32@hi+12
	s_swappc_b64 s[30:31], s[4:5]
	s_endpgm
	.section	.rodata,"a",@progbits
	.p2align	6, 0x0
	.amdhsa_kernel _ZN2at6native29vectorized_elementwise_kernelILi16EZZZNS0_12_GLOBAL__N_130modified_bessel_i1_kernel_cudaERNS_18TensorIteratorBaseEENKUlvE_clEvENKUlvE0_clEvEUlfE_St5arrayIPcLm2EEEEviT0_T1_
		.amdhsa_group_segment_fixed_size 0
		.amdhsa_private_segment_fixed_size 0
		.amdhsa_kernarg_size 24
		.amdhsa_user_sgpr_count 6
		.amdhsa_user_sgpr_private_segment_buffer 1
		.amdhsa_user_sgpr_dispatch_ptr 0
		.amdhsa_user_sgpr_queue_ptr 0
		.amdhsa_user_sgpr_kernarg_segment_ptr 1
		.amdhsa_user_sgpr_dispatch_id 0
		.amdhsa_user_sgpr_flat_scratch_init 0
		.amdhsa_user_sgpr_private_segment_size 0
		.amdhsa_wavefront_size32 1
		.amdhsa_uses_dynamic_stack 0
		.amdhsa_system_sgpr_private_segment_wavefront_offset 0
		.amdhsa_system_sgpr_workgroup_id_x 1
		.amdhsa_system_sgpr_workgroup_id_y 0
		.amdhsa_system_sgpr_workgroup_id_z 0
		.amdhsa_system_sgpr_workgroup_info 0
		.amdhsa_system_vgpr_workitem_id 0
		.amdhsa_next_free_vgpr 32
		.amdhsa_next_free_sgpr 33
		.amdhsa_reserve_vcc 1
		.amdhsa_reserve_flat_scratch 0
		.amdhsa_float_round_mode_32 0
		.amdhsa_float_round_mode_16_64 0
		.amdhsa_float_denorm_mode_32 3
		.amdhsa_float_denorm_mode_16_64 3
		.amdhsa_dx10_clamp 1
		.amdhsa_ieee_mode 1
		.amdhsa_fp16_overflow 0
		.amdhsa_workgroup_processor_mode 1
		.amdhsa_memory_ordered 1
		.amdhsa_forward_progress 1
		.amdhsa_shared_vgpr_count 0
		.amdhsa_exception_fp_ieee_invalid_op 0
		.amdhsa_exception_fp_denorm_src 0
		.amdhsa_exception_fp_ieee_div_zero 0
		.amdhsa_exception_fp_ieee_overflow 0
		.amdhsa_exception_fp_ieee_underflow 0
		.amdhsa_exception_fp_ieee_inexact 0
		.amdhsa_exception_int_div_zero 0
	.end_amdhsa_kernel
	.section	.text._ZN2at6native29vectorized_elementwise_kernelILi16EZZZNS0_12_GLOBAL__N_130modified_bessel_i1_kernel_cudaERNS_18TensorIteratorBaseEENKUlvE_clEvENKUlvE0_clEvEUlfE_St5arrayIPcLm2EEEEviT0_T1_,"axG",@progbits,_ZN2at6native29vectorized_elementwise_kernelILi16EZZZNS0_12_GLOBAL__N_130modified_bessel_i1_kernel_cudaERNS_18TensorIteratorBaseEENKUlvE_clEvENKUlvE0_clEvEUlfE_St5arrayIPcLm2EEEEviT0_T1_,comdat
.Lfunc_end12:
	.size	_ZN2at6native29vectorized_elementwise_kernelILi16EZZZNS0_12_GLOBAL__N_130modified_bessel_i1_kernel_cudaERNS_18TensorIteratorBaseEENKUlvE_clEvENKUlvE0_clEvEUlfE_St5arrayIPcLm2EEEEviT0_T1_, .Lfunc_end12-_ZN2at6native29vectorized_elementwise_kernelILi16EZZZNS0_12_GLOBAL__N_130modified_bessel_i1_kernel_cudaERNS_18TensorIteratorBaseEENKUlvE_clEvENKUlvE0_clEvEUlfE_St5arrayIPcLm2EEEEviT0_T1_
                                        ; -- End function
	.set _ZN2at6native29vectorized_elementwise_kernelILi16EZZZNS0_12_GLOBAL__N_130modified_bessel_i1_kernel_cudaERNS_18TensorIteratorBaseEENKUlvE_clEvENKUlvE0_clEvEUlfE_St5arrayIPcLm2EEEEviT0_T1_.num_vgpr, max(32, .L_ZN2at6native25elementwise_kernel_helperILb0EZZZNS0_12_GLOBAL__N_130modified_bessel_i1_kernel_cudaERNS_18TensorIteratorBaseEENKUlvE_clEvENKUlvE0_clEvEUlfE_NS0_6memory8policies10vectorizedILi4ESt5arrayIPcLm2EELi4EEEEEvT0_T1_.num_vgpr, .L_ZN2at6native25elementwise_kernel_helperILb0EZZZNS0_12_GLOBAL__N_130modified_bessel_i1_kernel_cudaERNS_18TensorIteratorBaseEENKUlvE_clEvENKUlvE0_clEvEUlfE_NS0_6memory8policies11unroll_baseILi256ESt5arrayIPcLm2EE23TrivialOffsetCalculatorILi1EjESF_NS8_15LoadWithoutCastENS8_16StoreWithoutCastELi4ELi1EEEEEvT0_T1_.num_vgpr)
	.set _ZN2at6native29vectorized_elementwise_kernelILi16EZZZNS0_12_GLOBAL__N_130modified_bessel_i1_kernel_cudaERNS_18TensorIteratorBaseEENKUlvE_clEvENKUlvE0_clEvEUlfE_St5arrayIPcLm2EEEEviT0_T1_.num_agpr, max(0, .L_ZN2at6native25elementwise_kernel_helperILb0EZZZNS0_12_GLOBAL__N_130modified_bessel_i1_kernel_cudaERNS_18TensorIteratorBaseEENKUlvE_clEvENKUlvE0_clEvEUlfE_NS0_6memory8policies10vectorizedILi4ESt5arrayIPcLm2EELi4EEEEEvT0_T1_.num_agpr, .L_ZN2at6native25elementwise_kernel_helperILb0EZZZNS0_12_GLOBAL__N_130modified_bessel_i1_kernel_cudaERNS_18TensorIteratorBaseEENKUlvE_clEvENKUlvE0_clEvEUlfE_NS0_6memory8policies11unroll_baseILi256ESt5arrayIPcLm2EE23TrivialOffsetCalculatorILi1EjESF_NS8_15LoadWithoutCastENS8_16StoreWithoutCastELi4ELi1EEEEEvT0_T1_.num_agpr)
	.set _ZN2at6native29vectorized_elementwise_kernelILi16EZZZNS0_12_GLOBAL__N_130modified_bessel_i1_kernel_cudaERNS_18TensorIteratorBaseEENKUlvE_clEvENKUlvE0_clEvEUlfE_St5arrayIPcLm2EEEEviT0_T1_.numbered_sgpr, max(33, .L_ZN2at6native25elementwise_kernel_helperILb0EZZZNS0_12_GLOBAL__N_130modified_bessel_i1_kernel_cudaERNS_18TensorIteratorBaseEENKUlvE_clEvENKUlvE0_clEvEUlfE_NS0_6memory8policies10vectorizedILi4ESt5arrayIPcLm2EELi4EEEEEvT0_T1_.numbered_sgpr, .L_ZN2at6native25elementwise_kernel_helperILb0EZZZNS0_12_GLOBAL__N_130modified_bessel_i1_kernel_cudaERNS_18TensorIteratorBaseEENKUlvE_clEvENKUlvE0_clEvEUlfE_NS0_6memory8policies11unroll_baseILi256ESt5arrayIPcLm2EE23TrivialOffsetCalculatorILi1EjESF_NS8_15LoadWithoutCastENS8_16StoreWithoutCastELi4ELi1EEEEEvT0_T1_.numbered_sgpr)
	.set _ZN2at6native29vectorized_elementwise_kernelILi16EZZZNS0_12_GLOBAL__N_130modified_bessel_i1_kernel_cudaERNS_18TensorIteratorBaseEENKUlvE_clEvENKUlvE0_clEvEUlfE_St5arrayIPcLm2EEEEviT0_T1_.num_named_barrier, max(0, .L_ZN2at6native25elementwise_kernel_helperILb0EZZZNS0_12_GLOBAL__N_130modified_bessel_i1_kernel_cudaERNS_18TensorIteratorBaseEENKUlvE_clEvENKUlvE0_clEvEUlfE_NS0_6memory8policies10vectorizedILi4ESt5arrayIPcLm2EELi4EEEEEvT0_T1_.num_named_barrier, .L_ZN2at6native25elementwise_kernel_helperILb0EZZZNS0_12_GLOBAL__N_130modified_bessel_i1_kernel_cudaERNS_18TensorIteratorBaseEENKUlvE_clEvENKUlvE0_clEvEUlfE_NS0_6memory8policies11unroll_baseILi256ESt5arrayIPcLm2EE23TrivialOffsetCalculatorILi1EjESF_NS8_15LoadWithoutCastENS8_16StoreWithoutCastELi4ELi1EEEEEvT0_T1_.num_named_barrier)
	.set _ZN2at6native29vectorized_elementwise_kernelILi16EZZZNS0_12_GLOBAL__N_130modified_bessel_i1_kernel_cudaERNS_18TensorIteratorBaseEENKUlvE_clEvENKUlvE0_clEvEUlfE_St5arrayIPcLm2EEEEviT0_T1_.private_seg_size, 0+max(.L_ZN2at6native25elementwise_kernel_helperILb0EZZZNS0_12_GLOBAL__N_130modified_bessel_i1_kernel_cudaERNS_18TensorIteratorBaseEENKUlvE_clEvENKUlvE0_clEvEUlfE_NS0_6memory8policies10vectorizedILi4ESt5arrayIPcLm2EELi4EEEEEvT0_T1_.private_seg_size, .L_ZN2at6native25elementwise_kernel_helperILb0EZZZNS0_12_GLOBAL__N_130modified_bessel_i1_kernel_cudaERNS_18TensorIteratorBaseEENKUlvE_clEvENKUlvE0_clEvEUlfE_NS0_6memory8policies11unroll_baseILi256ESt5arrayIPcLm2EE23TrivialOffsetCalculatorILi1EjESF_NS8_15LoadWithoutCastENS8_16StoreWithoutCastELi4ELi1EEEEEvT0_T1_.private_seg_size)
	.set _ZN2at6native29vectorized_elementwise_kernelILi16EZZZNS0_12_GLOBAL__N_130modified_bessel_i1_kernel_cudaERNS_18TensorIteratorBaseEENKUlvE_clEvENKUlvE0_clEvEUlfE_St5arrayIPcLm2EEEEviT0_T1_.uses_vcc, or(1, .L_ZN2at6native25elementwise_kernel_helperILb0EZZZNS0_12_GLOBAL__N_130modified_bessel_i1_kernel_cudaERNS_18TensorIteratorBaseEENKUlvE_clEvENKUlvE0_clEvEUlfE_NS0_6memory8policies10vectorizedILi4ESt5arrayIPcLm2EELi4EEEEEvT0_T1_.uses_vcc, .L_ZN2at6native25elementwise_kernel_helperILb0EZZZNS0_12_GLOBAL__N_130modified_bessel_i1_kernel_cudaERNS_18TensorIteratorBaseEENKUlvE_clEvENKUlvE0_clEvEUlfE_NS0_6memory8policies11unroll_baseILi256ESt5arrayIPcLm2EE23TrivialOffsetCalculatorILi1EjESF_NS8_15LoadWithoutCastENS8_16StoreWithoutCastELi4ELi1EEEEEvT0_T1_.uses_vcc)
	.set _ZN2at6native29vectorized_elementwise_kernelILi16EZZZNS0_12_GLOBAL__N_130modified_bessel_i1_kernel_cudaERNS_18TensorIteratorBaseEENKUlvE_clEvENKUlvE0_clEvEUlfE_St5arrayIPcLm2EEEEviT0_T1_.uses_flat_scratch, or(0, .L_ZN2at6native25elementwise_kernel_helperILb0EZZZNS0_12_GLOBAL__N_130modified_bessel_i1_kernel_cudaERNS_18TensorIteratorBaseEENKUlvE_clEvENKUlvE0_clEvEUlfE_NS0_6memory8policies10vectorizedILi4ESt5arrayIPcLm2EELi4EEEEEvT0_T1_.uses_flat_scratch, .L_ZN2at6native25elementwise_kernel_helperILb0EZZZNS0_12_GLOBAL__N_130modified_bessel_i1_kernel_cudaERNS_18TensorIteratorBaseEENKUlvE_clEvENKUlvE0_clEvEUlfE_NS0_6memory8policies11unroll_baseILi256ESt5arrayIPcLm2EE23TrivialOffsetCalculatorILi1EjESF_NS8_15LoadWithoutCastENS8_16StoreWithoutCastELi4ELi1EEEEEvT0_T1_.uses_flat_scratch)
	.set _ZN2at6native29vectorized_elementwise_kernelILi16EZZZNS0_12_GLOBAL__N_130modified_bessel_i1_kernel_cudaERNS_18TensorIteratorBaseEENKUlvE_clEvENKUlvE0_clEvEUlfE_St5arrayIPcLm2EEEEviT0_T1_.has_dyn_sized_stack, or(0, .L_ZN2at6native25elementwise_kernel_helperILb0EZZZNS0_12_GLOBAL__N_130modified_bessel_i1_kernel_cudaERNS_18TensorIteratorBaseEENKUlvE_clEvENKUlvE0_clEvEUlfE_NS0_6memory8policies10vectorizedILi4ESt5arrayIPcLm2EELi4EEEEEvT0_T1_.has_dyn_sized_stack, .L_ZN2at6native25elementwise_kernel_helperILb0EZZZNS0_12_GLOBAL__N_130modified_bessel_i1_kernel_cudaERNS_18TensorIteratorBaseEENKUlvE_clEvENKUlvE0_clEvEUlfE_NS0_6memory8policies11unroll_baseILi256ESt5arrayIPcLm2EE23TrivialOffsetCalculatorILi1EjESF_NS8_15LoadWithoutCastENS8_16StoreWithoutCastELi4ELi1EEEEEvT0_T1_.has_dyn_sized_stack)
	.set _ZN2at6native29vectorized_elementwise_kernelILi16EZZZNS0_12_GLOBAL__N_130modified_bessel_i1_kernel_cudaERNS_18TensorIteratorBaseEENKUlvE_clEvENKUlvE0_clEvEUlfE_St5arrayIPcLm2EEEEviT0_T1_.has_recursion, or(0, .L_ZN2at6native25elementwise_kernel_helperILb0EZZZNS0_12_GLOBAL__N_130modified_bessel_i1_kernel_cudaERNS_18TensorIteratorBaseEENKUlvE_clEvENKUlvE0_clEvEUlfE_NS0_6memory8policies10vectorizedILi4ESt5arrayIPcLm2EELi4EEEEEvT0_T1_.has_recursion, .L_ZN2at6native25elementwise_kernel_helperILb0EZZZNS0_12_GLOBAL__N_130modified_bessel_i1_kernel_cudaERNS_18TensorIteratorBaseEENKUlvE_clEvENKUlvE0_clEvEUlfE_NS0_6memory8policies11unroll_baseILi256ESt5arrayIPcLm2EE23TrivialOffsetCalculatorILi1EjESF_NS8_15LoadWithoutCastENS8_16StoreWithoutCastELi4ELi1EEEEEvT0_T1_.has_recursion)
	.set _ZN2at6native29vectorized_elementwise_kernelILi16EZZZNS0_12_GLOBAL__N_130modified_bessel_i1_kernel_cudaERNS_18TensorIteratorBaseEENKUlvE_clEvENKUlvE0_clEvEUlfE_St5arrayIPcLm2EEEEviT0_T1_.has_indirect_call, or(0, .L_ZN2at6native25elementwise_kernel_helperILb0EZZZNS0_12_GLOBAL__N_130modified_bessel_i1_kernel_cudaERNS_18TensorIteratorBaseEENKUlvE_clEvENKUlvE0_clEvEUlfE_NS0_6memory8policies10vectorizedILi4ESt5arrayIPcLm2EELi4EEEEEvT0_T1_.has_indirect_call, .L_ZN2at6native25elementwise_kernel_helperILb0EZZZNS0_12_GLOBAL__N_130modified_bessel_i1_kernel_cudaERNS_18TensorIteratorBaseEENKUlvE_clEvENKUlvE0_clEvEUlfE_NS0_6memory8policies11unroll_baseILi256ESt5arrayIPcLm2EE23TrivialOffsetCalculatorILi1EjESF_NS8_15LoadWithoutCastENS8_16StoreWithoutCastELi4ELi1EEEEEvT0_T1_.has_indirect_call)
	.section	.AMDGPU.csdata,"",@progbits
; Kernel info:
; codeLenInByte = 168
; TotalNumSgprs: 35
; NumVgprs: 32
; ScratchSize: 0
; MemoryBound: 0
; FloatMode: 240
; IeeeMode: 1
; LDSByteSize: 0 bytes/workgroup (compile time only)
; SGPRBlocks: 0
; VGPRBlocks: 3
; NumSGPRsForWavesPerEU: 35
; NumVGPRsForWavesPerEU: 32
; Occupancy: 16
; WaveLimiterHint : 0
; COMPUTE_PGM_RSRC2:SCRATCH_EN: 0
; COMPUTE_PGM_RSRC2:USER_SGPR: 6
; COMPUTE_PGM_RSRC2:TRAP_HANDLER: 0
; COMPUTE_PGM_RSRC2:TGID_X_EN: 1
; COMPUTE_PGM_RSRC2:TGID_Y_EN: 0
; COMPUTE_PGM_RSRC2:TGID_Z_EN: 0
; COMPUTE_PGM_RSRC2:TIDIG_COMP_CNT: 0
	.section	.text._ZN2at6native29vectorized_elementwise_kernelILi8EZZZNS0_12_GLOBAL__N_130modified_bessel_i1_kernel_cudaERNS_18TensorIteratorBaseEENKUlvE_clEvENKUlvE0_clEvEUlfE_St5arrayIPcLm2EEEEviT0_T1_,"axG",@progbits,_ZN2at6native29vectorized_elementwise_kernelILi8EZZZNS0_12_GLOBAL__N_130modified_bessel_i1_kernel_cudaERNS_18TensorIteratorBaseEENKUlvE_clEvENKUlvE0_clEvEUlfE_St5arrayIPcLm2EEEEviT0_T1_,comdat
	.globl	_ZN2at6native29vectorized_elementwise_kernelILi8EZZZNS0_12_GLOBAL__N_130modified_bessel_i1_kernel_cudaERNS_18TensorIteratorBaseEENKUlvE_clEvENKUlvE0_clEvEUlfE_St5arrayIPcLm2EEEEviT0_T1_ ; -- Begin function _ZN2at6native29vectorized_elementwise_kernelILi8EZZZNS0_12_GLOBAL__N_130modified_bessel_i1_kernel_cudaERNS_18TensorIteratorBaseEENKUlvE_clEvENKUlvE0_clEvEUlfE_St5arrayIPcLm2EEEEviT0_T1_
	.p2align	8
	.type	_ZN2at6native29vectorized_elementwise_kernelILi8EZZZNS0_12_GLOBAL__N_130modified_bessel_i1_kernel_cudaERNS_18TensorIteratorBaseEENKUlvE_clEvENKUlvE0_clEvEUlfE_St5arrayIPcLm2EEEEviT0_T1_,@function
_ZN2at6native29vectorized_elementwise_kernelILi8EZZZNS0_12_GLOBAL__N_130modified_bessel_i1_kernel_cudaERNS_18TensorIteratorBaseEENKUlvE_clEvENKUlvE0_clEvEUlfE_St5arrayIPcLm2EEEEviT0_T1_: ; @_ZN2at6native29vectorized_elementwise_kernelILi8EZZZNS0_12_GLOBAL__N_130modified_bessel_i1_kernel_cudaERNS_18TensorIteratorBaseEENKUlvE_clEvENKUlvE0_clEvEUlfE_St5arrayIPcLm2EEEEviT0_T1_
; %bb.0:
	s_mov_b32 s12, s6
	s_clause 0x1
	s_load_dword s6, s[4:5], 0x0
	s_load_dwordx4 s[16:19], s[4:5], 0x8
	s_add_u32 s0, s0, s7
	s_addc_u32 s1, s1, 0
	s_lshl_b32 s4, s12, 10
	v_mov_b32_e32 v31, v0
	s_mov_b32 s32, 0
	s_waitcnt lgkmcnt(0)
	s_sub_i32 s9, s6, s4
	s_mov_b32 s4, -1
	s_cmpk_gt_i32 s9, 0x3ff
	s_cbranch_scc1 .LBB13_3
; %bb.1:
	s_andn2_b32 vcc_lo, exec_lo, s4
	s_cbranch_vccz .LBB13_4
.LBB13_2:
	s_endpgm
.LBB13_3:
	v_mov_b32_e32 v0, s16
	v_mov_b32_e32 v1, s17
	;; [unrolled: 1-line block ×4, first 2 shown]
	s_getpc_b64 s[4:5]
	s_add_u32 s4, s4, _ZN2at6native25elementwise_kernel_helperILb0EZZZNS0_12_GLOBAL__N_130modified_bessel_i1_kernel_cudaERNS_18TensorIteratorBaseEENKUlvE_clEvENKUlvE0_clEvEUlfE_NS0_6memory8policies10vectorizedILi4ESt5arrayIPcLm2EELi4EEEEEvT0_T1_@rel32@lo+4
	s_addc_u32 s5, s5, _ZN2at6native25elementwise_kernel_helperILb0EZZZNS0_12_GLOBAL__N_130modified_bessel_i1_kernel_cudaERNS_18TensorIteratorBaseEENKUlvE_clEvENKUlvE0_clEvEUlfE_NS0_6memory8policies10vectorizedILi4ESt5arrayIPcLm2EELi4EEEEEvT0_T1_@rel32@hi+12
	s_swappc_b64 s[30:31], s[4:5]
	s_cbranch_execnz .LBB13_2
.LBB13_4:
	v_mov_b32_e32 v0, s16
	v_mov_b32_e32 v1, s17
	;; [unrolled: 1-line block ×5, first 2 shown]
	s_getpc_b64 s[4:5]
	s_add_u32 s4, s4, _ZN2at6native25elementwise_kernel_helperILb0EZZZNS0_12_GLOBAL__N_130modified_bessel_i1_kernel_cudaERNS_18TensorIteratorBaseEENKUlvE_clEvENKUlvE0_clEvEUlfE_NS0_6memory8policies11unroll_baseILi256ESt5arrayIPcLm2EE23TrivialOffsetCalculatorILi1EjESF_NS8_15LoadWithoutCastENS8_16StoreWithoutCastELi4ELi1EEEEEvT0_T1_@rel32@lo+4
	s_addc_u32 s5, s5, _ZN2at6native25elementwise_kernel_helperILb0EZZZNS0_12_GLOBAL__N_130modified_bessel_i1_kernel_cudaERNS_18TensorIteratorBaseEENKUlvE_clEvENKUlvE0_clEvEUlfE_NS0_6memory8policies11unroll_baseILi256ESt5arrayIPcLm2EE23TrivialOffsetCalculatorILi1EjESF_NS8_15LoadWithoutCastENS8_16StoreWithoutCastELi4ELi1EEEEEvT0_T1_@rel32@hi+12
	s_swappc_b64 s[30:31], s[4:5]
	s_endpgm
	.section	.rodata,"a",@progbits
	.p2align	6, 0x0
	.amdhsa_kernel _ZN2at6native29vectorized_elementwise_kernelILi8EZZZNS0_12_GLOBAL__N_130modified_bessel_i1_kernel_cudaERNS_18TensorIteratorBaseEENKUlvE_clEvENKUlvE0_clEvEUlfE_St5arrayIPcLm2EEEEviT0_T1_
		.amdhsa_group_segment_fixed_size 0
		.amdhsa_private_segment_fixed_size 0
		.amdhsa_kernarg_size 24
		.amdhsa_user_sgpr_count 6
		.amdhsa_user_sgpr_private_segment_buffer 1
		.amdhsa_user_sgpr_dispatch_ptr 0
		.amdhsa_user_sgpr_queue_ptr 0
		.amdhsa_user_sgpr_kernarg_segment_ptr 1
		.amdhsa_user_sgpr_dispatch_id 0
		.amdhsa_user_sgpr_flat_scratch_init 0
		.amdhsa_user_sgpr_private_segment_size 0
		.amdhsa_wavefront_size32 1
		.amdhsa_uses_dynamic_stack 0
		.amdhsa_system_sgpr_private_segment_wavefront_offset 0
		.amdhsa_system_sgpr_workgroup_id_x 1
		.amdhsa_system_sgpr_workgroup_id_y 0
		.amdhsa_system_sgpr_workgroup_id_z 0
		.amdhsa_system_sgpr_workgroup_info 0
		.amdhsa_system_vgpr_workitem_id 0
		.amdhsa_next_free_vgpr 32
		.amdhsa_next_free_sgpr 33
		.amdhsa_reserve_vcc 1
		.amdhsa_reserve_flat_scratch 0
		.amdhsa_float_round_mode_32 0
		.amdhsa_float_round_mode_16_64 0
		.amdhsa_float_denorm_mode_32 3
		.amdhsa_float_denorm_mode_16_64 3
		.amdhsa_dx10_clamp 1
		.amdhsa_ieee_mode 1
		.amdhsa_fp16_overflow 0
		.amdhsa_workgroup_processor_mode 1
		.amdhsa_memory_ordered 1
		.amdhsa_forward_progress 1
		.amdhsa_shared_vgpr_count 0
		.amdhsa_exception_fp_ieee_invalid_op 0
		.amdhsa_exception_fp_denorm_src 0
		.amdhsa_exception_fp_ieee_div_zero 0
		.amdhsa_exception_fp_ieee_overflow 0
		.amdhsa_exception_fp_ieee_underflow 0
		.amdhsa_exception_fp_ieee_inexact 0
		.amdhsa_exception_int_div_zero 0
	.end_amdhsa_kernel
	.section	.text._ZN2at6native29vectorized_elementwise_kernelILi8EZZZNS0_12_GLOBAL__N_130modified_bessel_i1_kernel_cudaERNS_18TensorIteratorBaseEENKUlvE_clEvENKUlvE0_clEvEUlfE_St5arrayIPcLm2EEEEviT0_T1_,"axG",@progbits,_ZN2at6native29vectorized_elementwise_kernelILi8EZZZNS0_12_GLOBAL__N_130modified_bessel_i1_kernel_cudaERNS_18TensorIteratorBaseEENKUlvE_clEvENKUlvE0_clEvEUlfE_St5arrayIPcLm2EEEEviT0_T1_,comdat
.Lfunc_end13:
	.size	_ZN2at6native29vectorized_elementwise_kernelILi8EZZZNS0_12_GLOBAL__N_130modified_bessel_i1_kernel_cudaERNS_18TensorIteratorBaseEENKUlvE_clEvENKUlvE0_clEvEUlfE_St5arrayIPcLm2EEEEviT0_T1_, .Lfunc_end13-_ZN2at6native29vectorized_elementwise_kernelILi8EZZZNS0_12_GLOBAL__N_130modified_bessel_i1_kernel_cudaERNS_18TensorIteratorBaseEENKUlvE_clEvENKUlvE0_clEvEUlfE_St5arrayIPcLm2EEEEviT0_T1_
                                        ; -- End function
	.set _ZN2at6native29vectorized_elementwise_kernelILi8EZZZNS0_12_GLOBAL__N_130modified_bessel_i1_kernel_cudaERNS_18TensorIteratorBaseEENKUlvE_clEvENKUlvE0_clEvEUlfE_St5arrayIPcLm2EEEEviT0_T1_.num_vgpr, max(32, .L_ZN2at6native25elementwise_kernel_helperILb0EZZZNS0_12_GLOBAL__N_130modified_bessel_i1_kernel_cudaERNS_18TensorIteratorBaseEENKUlvE_clEvENKUlvE0_clEvEUlfE_NS0_6memory8policies10vectorizedILi4ESt5arrayIPcLm2EELi4EEEEEvT0_T1_.num_vgpr, .L_ZN2at6native25elementwise_kernel_helperILb0EZZZNS0_12_GLOBAL__N_130modified_bessel_i1_kernel_cudaERNS_18TensorIteratorBaseEENKUlvE_clEvENKUlvE0_clEvEUlfE_NS0_6memory8policies11unroll_baseILi256ESt5arrayIPcLm2EE23TrivialOffsetCalculatorILi1EjESF_NS8_15LoadWithoutCastENS8_16StoreWithoutCastELi4ELi1EEEEEvT0_T1_.num_vgpr)
	.set _ZN2at6native29vectorized_elementwise_kernelILi8EZZZNS0_12_GLOBAL__N_130modified_bessel_i1_kernel_cudaERNS_18TensorIteratorBaseEENKUlvE_clEvENKUlvE0_clEvEUlfE_St5arrayIPcLm2EEEEviT0_T1_.num_agpr, max(0, .L_ZN2at6native25elementwise_kernel_helperILb0EZZZNS0_12_GLOBAL__N_130modified_bessel_i1_kernel_cudaERNS_18TensorIteratorBaseEENKUlvE_clEvENKUlvE0_clEvEUlfE_NS0_6memory8policies10vectorizedILi4ESt5arrayIPcLm2EELi4EEEEEvT0_T1_.num_agpr, .L_ZN2at6native25elementwise_kernel_helperILb0EZZZNS0_12_GLOBAL__N_130modified_bessel_i1_kernel_cudaERNS_18TensorIteratorBaseEENKUlvE_clEvENKUlvE0_clEvEUlfE_NS0_6memory8policies11unroll_baseILi256ESt5arrayIPcLm2EE23TrivialOffsetCalculatorILi1EjESF_NS8_15LoadWithoutCastENS8_16StoreWithoutCastELi4ELi1EEEEEvT0_T1_.num_agpr)
	.set _ZN2at6native29vectorized_elementwise_kernelILi8EZZZNS0_12_GLOBAL__N_130modified_bessel_i1_kernel_cudaERNS_18TensorIteratorBaseEENKUlvE_clEvENKUlvE0_clEvEUlfE_St5arrayIPcLm2EEEEviT0_T1_.numbered_sgpr, max(33, .L_ZN2at6native25elementwise_kernel_helperILb0EZZZNS0_12_GLOBAL__N_130modified_bessel_i1_kernel_cudaERNS_18TensorIteratorBaseEENKUlvE_clEvENKUlvE0_clEvEUlfE_NS0_6memory8policies10vectorizedILi4ESt5arrayIPcLm2EELi4EEEEEvT0_T1_.numbered_sgpr, .L_ZN2at6native25elementwise_kernel_helperILb0EZZZNS0_12_GLOBAL__N_130modified_bessel_i1_kernel_cudaERNS_18TensorIteratorBaseEENKUlvE_clEvENKUlvE0_clEvEUlfE_NS0_6memory8policies11unroll_baseILi256ESt5arrayIPcLm2EE23TrivialOffsetCalculatorILi1EjESF_NS8_15LoadWithoutCastENS8_16StoreWithoutCastELi4ELi1EEEEEvT0_T1_.numbered_sgpr)
	.set _ZN2at6native29vectorized_elementwise_kernelILi8EZZZNS0_12_GLOBAL__N_130modified_bessel_i1_kernel_cudaERNS_18TensorIteratorBaseEENKUlvE_clEvENKUlvE0_clEvEUlfE_St5arrayIPcLm2EEEEviT0_T1_.num_named_barrier, max(0, .L_ZN2at6native25elementwise_kernel_helperILb0EZZZNS0_12_GLOBAL__N_130modified_bessel_i1_kernel_cudaERNS_18TensorIteratorBaseEENKUlvE_clEvENKUlvE0_clEvEUlfE_NS0_6memory8policies10vectorizedILi4ESt5arrayIPcLm2EELi4EEEEEvT0_T1_.num_named_barrier, .L_ZN2at6native25elementwise_kernel_helperILb0EZZZNS0_12_GLOBAL__N_130modified_bessel_i1_kernel_cudaERNS_18TensorIteratorBaseEENKUlvE_clEvENKUlvE0_clEvEUlfE_NS0_6memory8policies11unroll_baseILi256ESt5arrayIPcLm2EE23TrivialOffsetCalculatorILi1EjESF_NS8_15LoadWithoutCastENS8_16StoreWithoutCastELi4ELi1EEEEEvT0_T1_.num_named_barrier)
	.set _ZN2at6native29vectorized_elementwise_kernelILi8EZZZNS0_12_GLOBAL__N_130modified_bessel_i1_kernel_cudaERNS_18TensorIteratorBaseEENKUlvE_clEvENKUlvE0_clEvEUlfE_St5arrayIPcLm2EEEEviT0_T1_.private_seg_size, 0+max(.L_ZN2at6native25elementwise_kernel_helperILb0EZZZNS0_12_GLOBAL__N_130modified_bessel_i1_kernel_cudaERNS_18TensorIteratorBaseEENKUlvE_clEvENKUlvE0_clEvEUlfE_NS0_6memory8policies10vectorizedILi4ESt5arrayIPcLm2EELi4EEEEEvT0_T1_.private_seg_size, .L_ZN2at6native25elementwise_kernel_helperILb0EZZZNS0_12_GLOBAL__N_130modified_bessel_i1_kernel_cudaERNS_18TensorIteratorBaseEENKUlvE_clEvENKUlvE0_clEvEUlfE_NS0_6memory8policies11unroll_baseILi256ESt5arrayIPcLm2EE23TrivialOffsetCalculatorILi1EjESF_NS8_15LoadWithoutCastENS8_16StoreWithoutCastELi4ELi1EEEEEvT0_T1_.private_seg_size)
	.set _ZN2at6native29vectorized_elementwise_kernelILi8EZZZNS0_12_GLOBAL__N_130modified_bessel_i1_kernel_cudaERNS_18TensorIteratorBaseEENKUlvE_clEvENKUlvE0_clEvEUlfE_St5arrayIPcLm2EEEEviT0_T1_.uses_vcc, or(1, .L_ZN2at6native25elementwise_kernel_helperILb0EZZZNS0_12_GLOBAL__N_130modified_bessel_i1_kernel_cudaERNS_18TensorIteratorBaseEENKUlvE_clEvENKUlvE0_clEvEUlfE_NS0_6memory8policies10vectorizedILi4ESt5arrayIPcLm2EELi4EEEEEvT0_T1_.uses_vcc, .L_ZN2at6native25elementwise_kernel_helperILb0EZZZNS0_12_GLOBAL__N_130modified_bessel_i1_kernel_cudaERNS_18TensorIteratorBaseEENKUlvE_clEvENKUlvE0_clEvEUlfE_NS0_6memory8policies11unroll_baseILi256ESt5arrayIPcLm2EE23TrivialOffsetCalculatorILi1EjESF_NS8_15LoadWithoutCastENS8_16StoreWithoutCastELi4ELi1EEEEEvT0_T1_.uses_vcc)
	.set _ZN2at6native29vectorized_elementwise_kernelILi8EZZZNS0_12_GLOBAL__N_130modified_bessel_i1_kernel_cudaERNS_18TensorIteratorBaseEENKUlvE_clEvENKUlvE0_clEvEUlfE_St5arrayIPcLm2EEEEviT0_T1_.uses_flat_scratch, or(0, .L_ZN2at6native25elementwise_kernel_helperILb0EZZZNS0_12_GLOBAL__N_130modified_bessel_i1_kernel_cudaERNS_18TensorIteratorBaseEENKUlvE_clEvENKUlvE0_clEvEUlfE_NS0_6memory8policies10vectorizedILi4ESt5arrayIPcLm2EELi4EEEEEvT0_T1_.uses_flat_scratch, .L_ZN2at6native25elementwise_kernel_helperILb0EZZZNS0_12_GLOBAL__N_130modified_bessel_i1_kernel_cudaERNS_18TensorIteratorBaseEENKUlvE_clEvENKUlvE0_clEvEUlfE_NS0_6memory8policies11unroll_baseILi256ESt5arrayIPcLm2EE23TrivialOffsetCalculatorILi1EjESF_NS8_15LoadWithoutCastENS8_16StoreWithoutCastELi4ELi1EEEEEvT0_T1_.uses_flat_scratch)
	.set _ZN2at6native29vectorized_elementwise_kernelILi8EZZZNS0_12_GLOBAL__N_130modified_bessel_i1_kernel_cudaERNS_18TensorIteratorBaseEENKUlvE_clEvENKUlvE0_clEvEUlfE_St5arrayIPcLm2EEEEviT0_T1_.has_dyn_sized_stack, or(0, .L_ZN2at6native25elementwise_kernel_helperILb0EZZZNS0_12_GLOBAL__N_130modified_bessel_i1_kernel_cudaERNS_18TensorIteratorBaseEENKUlvE_clEvENKUlvE0_clEvEUlfE_NS0_6memory8policies10vectorizedILi4ESt5arrayIPcLm2EELi4EEEEEvT0_T1_.has_dyn_sized_stack, .L_ZN2at6native25elementwise_kernel_helperILb0EZZZNS0_12_GLOBAL__N_130modified_bessel_i1_kernel_cudaERNS_18TensorIteratorBaseEENKUlvE_clEvENKUlvE0_clEvEUlfE_NS0_6memory8policies11unroll_baseILi256ESt5arrayIPcLm2EE23TrivialOffsetCalculatorILi1EjESF_NS8_15LoadWithoutCastENS8_16StoreWithoutCastELi4ELi1EEEEEvT0_T1_.has_dyn_sized_stack)
	.set _ZN2at6native29vectorized_elementwise_kernelILi8EZZZNS0_12_GLOBAL__N_130modified_bessel_i1_kernel_cudaERNS_18TensorIteratorBaseEENKUlvE_clEvENKUlvE0_clEvEUlfE_St5arrayIPcLm2EEEEviT0_T1_.has_recursion, or(0, .L_ZN2at6native25elementwise_kernel_helperILb0EZZZNS0_12_GLOBAL__N_130modified_bessel_i1_kernel_cudaERNS_18TensorIteratorBaseEENKUlvE_clEvENKUlvE0_clEvEUlfE_NS0_6memory8policies10vectorizedILi4ESt5arrayIPcLm2EELi4EEEEEvT0_T1_.has_recursion, .L_ZN2at6native25elementwise_kernel_helperILb0EZZZNS0_12_GLOBAL__N_130modified_bessel_i1_kernel_cudaERNS_18TensorIteratorBaseEENKUlvE_clEvENKUlvE0_clEvEUlfE_NS0_6memory8policies11unroll_baseILi256ESt5arrayIPcLm2EE23TrivialOffsetCalculatorILi1EjESF_NS8_15LoadWithoutCastENS8_16StoreWithoutCastELi4ELi1EEEEEvT0_T1_.has_recursion)
	.set _ZN2at6native29vectorized_elementwise_kernelILi8EZZZNS0_12_GLOBAL__N_130modified_bessel_i1_kernel_cudaERNS_18TensorIteratorBaseEENKUlvE_clEvENKUlvE0_clEvEUlfE_St5arrayIPcLm2EEEEviT0_T1_.has_indirect_call, or(0, .L_ZN2at6native25elementwise_kernel_helperILb0EZZZNS0_12_GLOBAL__N_130modified_bessel_i1_kernel_cudaERNS_18TensorIteratorBaseEENKUlvE_clEvENKUlvE0_clEvEUlfE_NS0_6memory8policies10vectorizedILi4ESt5arrayIPcLm2EELi4EEEEEvT0_T1_.has_indirect_call, .L_ZN2at6native25elementwise_kernel_helperILb0EZZZNS0_12_GLOBAL__N_130modified_bessel_i1_kernel_cudaERNS_18TensorIteratorBaseEENKUlvE_clEvENKUlvE0_clEvEUlfE_NS0_6memory8policies11unroll_baseILi256ESt5arrayIPcLm2EE23TrivialOffsetCalculatorILi1EjESF_NS8_15LoadWithoutCastENS8_16StoreWithoutCastELi4ELi1EEEEEvT0_T1_.has_indirect_call)
	.section	.AMDGPU.csdata,"",@progbits
; Kernel info:
; codeLenInByte = 168
; TotalNumSgprs: 35
; NumVgprs: 32
; ScratchSize: 0
; MemoryBound: 0
; FloatMode: 240
; IeeeMode: 1
; LDSByteSize: 0 bytes/workgroup (compile time only)
; SGPRBlocks: 0
; VGPRBlocks: 3
; NumSGPRsForWavesPerEU: 35
; NumVGPRsForWavesPerEU: 32
; Occupancy: 16
; WaveLimiterHint : 0
; COMPUTE_PGM_RSRC2:SCRATCH_EN: 0
; COMPUTE_PGM_RSRC2:USER_SGPR: 6
; COMPUTE_PGM_RSRC2:TRAP_HANDLER: 0
; COMPUTE_PGM_RSRC2:TGID_X_EN: 1
; COMPUTE_PGM_RSRC2:TGID_Y_EN: 0
; COMPUTE_PGM_RSRC2:TGID_Z_EN: 0
; COMPUTE_PGM_RSRC2:TIDIG_COMP_CNT: 0
	.section	.text._ZN2at6native29vectorized_elementwise_kernelILi4EZZZNS0_12_GLOBAL__N_130modified_bessel_i1_kernel_cudaERNS_18TensorIteratorBaseEENKUlvE_clEvENKUlvE0_clEvEUlfE_St5arrayIPcLm2EEEEviT0_T1_,"axG",@progbits,_ZN2at6native29vectorized_elementwise_kernelILi4EZZZNS0_12_GLOBAL__N_130modified_bessel_i1_kernel_cudaERNS_18TensorIteratorBaseEENKUlvE_clEvENKUlvE0_clEvEUlfE_St5arrayIPcLm2EEEEviT0_T1_,comdat
	.globl	_ZN2at6native29vectorized_elementwise_kernelILi4EZZZNS0_12_GLOBAL__N_130modified_bessel_i1_kernel_cudaERNS_18TensorIteratorBaseEENKUlvE_clEvENKUlvE0_clEvEUlfE_St5arrayIPcLm2EEEEviT0_T1_ ; -- Begin function _ZN2at6native29vectorized_elementwise_kernelILi4EZZZNS0_12_GLOBAL__N_130modified_bessel_i1_kernel_cudaERNS_18TensorIteratorBaseEENKUlvE_clEvENKUlvE0_clEvEUlfE_St5arrayIPcLm2EEEEviT0_T1_
	.p2align	8
	.type	_ZN2at6native29vectorized_elementwise_kernelILi4EZZZNS0_12_GLOBAL__N_130modified_bessel_i1_kernel_cudaERNS_18TensorIteratorBaseEENKUlvE_clEvENKUlvE0_clEvEUlfE_St5arrayIPcLm2EEEEviT0_T1_,@function
_ZN2at6native29vectorized_elementwise_kernelILi4EZZZNS0_12_GLOBAL__N_130modified_bessel_i1_kernel_cudaERNS_18TensorIteratorBaseEENKUlvE_clEvENKUlvE0_clEvEUlfE_St5arrayIPcLm2EEEEviT0_T1_: ; @_ZN2at6native29vectorized_elementwise_kernelILi4EZZZNS0_12_GLOBAL__N_130modified_bessel_i1_kernel_cudaERNS_18TensorIteratorBaseEENKUlvE_clEvENKUlvE0_clEvEUlfE_St5arrayIPcLm2EEEEviT0_T1_
; %bb.0:
	s_mov_b32 s12, s6
	s_clause 0x1
	s_load_dword s6, s[4:5], 0x0
	s_load_dwordx4 s[16:19], s[4:5], 0x8
	s_add_u32 s0, s0, s7
	s_addc_u32 s1, s1, 0
	s_lshl_b32 s4, s12, 10
	v_mov_b32_e32 v31, v0
	s_mov_b32 s32, 0
	s_waitcnt lgkmcnt(0)
	s_sub_i32 s9, s6, s4
	s_mov_b32 s4, -1
	s_cmpk_gt_i32 s9, 0x3ff
	s_cbranch_scc1 .LBB14_3
; %bb.1:
	s_andn2_b32 vcc_lo, exec_lo, s4
	s_cbranch_vccz .LBB14_4
.LBB14_2:
	s_endpgm
.LBB14_3:
	v_mov_b32_e32 v0, s16
	v_mov_b32_e32 v1, s17
	;; [unrolled: 1-line block ×4, first 2 shown]
	s_getpc_b64 s[4:5]
	s_add_u32 s4, s4, _ZN2at6native25elementwise_kernel_helperILb0EZZZNS0_12_GLOBAL__N_130modified_bessel_i1_kernel_cudaERNS_18TensorIteratorBaseEENKUlvE_clEvENKUlvE0_clEvEUlfE_NS0_6memory8policies10vectorizedILi4ESt5arrayIPcLm2EELi4EEEEEvT0_T1_@rel32@lo+4
	s_addc_u32 s5, s5, _ZN2at6native25elementwise_kernel_helperILb0EZZZNS0_12_GLOBAL__N_130modified_bessel_i1_kernel_cudaERNS_18TensorIteratorBaseEENKUlvE_clEvENKUlvE0_clEvEUlfE_NS0_6memory8policies10vectorizedILi4ESt5arrayIPcLm2EELi4EEEEEvT0_T1_@rel32@hi+12
	s_swappc_b64 s[30:31], s[4:5]
	s_cbranch_execnz .LBB14_2
.LBB14_4:
	v_mov_b32_e32 v0, s16
	v_mov_b32_e32 v1, s17
	;; [unrolled: 1-line block ×5, first 2 shown]
	s_getpc_b64 s[4:5]
	s_add_u32 s4, s4, _ZN2at6native25elementwise_kernel_helperILb0EZZZNS0_12_GLOBAL__N_130modified_bessel_i1_kernel_cudaERNS_18TensorIteratorBaseEENKUlvE_clEvENKUlvE0_clEvEUlfE_NS0_6memory8policies11unroll_baseILi256ESt5arrayIPcLm2EE23TrivialOffsetCalculatorILi1EjESF_NS8_15LoadWithoutCastENS8_16StoreWithoutCastELi4ELi1EEEEEvT0_T1_@rel32@lo+4
	s_addc_u32 s5, s5, _ZN2at6native25elementwise_kernel_helperILb0EZZZNS0_12_GLOBAL__N_130modified_bessel_i1_kernel_cudaERNS_18TensorIteratorBaseEENKUlvE_clEvENKUlvE0_clEvEUlfE_NS0_6memory8policies11unroll_baseILi256ESt5arrayIPcLm2EE23TrivialOffsetCalculatorILi1EjESF_NS8_15LoadWithoutCastENS8_16StoreWithoutCastELi4ELi1EEEEEvT0_T1_@rel32@hi+12
	s_swappc_b64 s[30:31], s[4:5]
	s_endpgm
	.section	.rodata,"a",@progbits
	.p2align	6, 0x0
	.amdhsa_kernel _ZN2at6native29vectorized_elementwise_kernelILi4EZZZNS0_12_GLOBAL__N_130modified_bessel_i1_kernel_cudaERNS_18TensorIteratorBaseEENKUlvE_clEvENKUlvE0_clEvEUlfE_St5arrayIPcLm2EEEEviT0_T1_
		.amdhsa_group_segment_fixed_size 0
		.amdhsa_private_segment_fixed_size 0
		.amdhsa_kernarg_size 24
		.amdhsa_user_sgpr_count 6
		.amdhsa_user_sgpr_private_segment_buffer 1
		.amdhsa_user_sgpr_dispatch_ptr 0
		.amdhsa_user_sgpr_queue_ptr 0
		.amdhsa_user_sgpr_kernarg_segment_ptr 1
		.amdhsa_user_sgpr_dispatch_id 0
		.amdhsa_user_sgpr_flat_scratch_init 0
		.amdhsa_user_sgpr_private_segment_size 0
		.amdhsa_wavefront_size32 1
		.amdhsa_uses_dynamic_stack 0
		.amdhsa_system_sgpr_private_segment_wavefront_offset 0
		.amdhsa_system_sgpr_workgroup_id_x 1
		.amdhsa_system_sgpr_workgroup_id_y 0
		.amdhsa_system_sgpr_workgroup_id_z 0
		.amdhsa_system_sgpr_workgroup_info 0
		.amdhsa_system_vgpr_workitem_id 0
		.amdhsa_next_free_vgpr 32
		.amdhsa_next_free_sgpr 33
		.amdhsa_reserve_vcc 1
		.amdhsa_reserve_flat_scratch 0
		.amdhsa_float_round_mode_32 0
		.amdhsa_float_round_mode_16_64 0
		.amdhsa_float_denorm_mode_32 3
		.amdhsa_float_denorm_mode_16_64 3
		.amdhsa_dx10_clamp 1
		.amdhsa_ieee_mode 1
		.amdhsa_fp16_overflow 0
		.amdhsa_workgroup_processor_mode 1
		.amdhsa_memory_ordered 1
		.amdhsa_forward_progress 1
		.amdhsa_shared_vgpr_count 0
		.amdhsa_exception_fp_ieee_invalid_op 0
		.amdhsa_exception_fp_denorm_src 0
		.amdhsa_exception_fp_ieee_div_zero 0
		.amdhsa_exception_fp_ieee_overflow 0
		.amdhsa_exception_fp_ieee_underflow 0
		.amdhsa_exception_fp_ieee_inexact 0
		.amdhsa_exception_int_div_zero 0
	.end_amdhsa_kernel
	.section	.text._ZN2at6native29vectorized_elementwise_kernelILi4EZZZNS0_12_GLOBAL__N_130modified_bessel_i1_kernel_cudaERNS_18TensorIteratorBaseEENKUlvE_clEvENKUlvE0_clEvEUlfE_St5arrayIPcLm2EEEEviT0_T1_,"axG",@progbits,_ZN2at6native29vectorized_elementwise_kernelILi4EZZZNS0_12_GLOBAL__N_130modified_bessel_i1_kernel_cudaERNS_18TensorIteratorBaseEENKUlvE_clEvENKUlvE0_clEvEUlfE_St5arrayIPcLm2EEEEviT0_T1_,comdat
.Lfunc_end14:
	.size	_ZN2at6native29vectorized_elementwise_kernelILi4EZZZNS0_12_GLOBAL__N_130modified_bessel_i1_kernel_cudaERNS_18TensorIteratorBaseEENKUlvE_clEvENKUlvE0_clEvEUlfE_St5arrayIPcLm2EEEEviT0_T1_, .Lfunc_end14-_ZN2at6native29vectorized_elementwise_kernelILi4EZZZNS0_12_GLOBAL__N_130modified_bessel_i1_kernel_cudaERNS_18TensorIteratorBaseEENKUlvE_clEvENKUlvE0_clEvEUlfE_St5arrayIPcLm2EEEEviT0_T1_
                                        ; -- End function
	.set _ZN2at6native29vectorized_elementwise_kernelILi4EZZZNS0_12_GLOBAL__N_130modified_bessel_i1_kernel_cudaERNS_18TensorIteratorBaseEENKUlvE_clEvENKUlvE0_clEvEUlfE_St5arrayIPcLm2EEEEviT0_T1_.num_vgpr, max(32, .L_ZN2at6native25elementwise_kernel_helperILb0EZZZNS0_12_GLOBAL__N_130modified_bessel_i1_kernel_cudaERNS_18TensorIteratorBaseEENKUlvE_clEvENKUlvE0_clEvEUlfE_NS0_6memory8policies10vectorizedILi4ESt5arrayIPcLm2EELi4EEEEEvT0_T1_.num_vgpr, .L_ZN2at6native25elementwise_kernel_helperILb0EZZZNS0_12_GLOBAL__N_130modified_bessel_i1_kernel_cudaERNS_18TensorIteratorBaseEENKUlvE_clEvENKUlvE0_clEvEUlfE_NS0_6memory8policies11unroll_baseILi256ESt5arrayIPcLm2EE23TrivialOffsetCalculatorILi1EjESF_NS8_15LoadWithoutCastENS8_16StoreWithoutCastELi4ELi1EEEEEvT0_T1_.num_vgpr)
	.set _ZN2at6native29vectorized_elementwise_kernelILi4EZZZNS0_12_GLOBAL__N_130modified_bessel_i1_kernel_cudaERNS_18TensorIteratorBaseEENKUlvE_clEvENKUlvE0_clEvEUlfE_St5arrayIPcLm2EEEEviT0_T1_.num_agpr, max(0, .L_ZN2at6native25elementwise_kernel_helperILb0EZZZNS0_12_GLOBAL__N_130modified_bessel_i1_kernel_cudaERNS_18TensorIteratorBaseEENKUlvE_clEvENKUlvE0_clEvEUlfE_NS0_6memory8policies10vectorizedILi4ESt5arrayIPcLm2EELi4EEEEEvT0_T1_.num_agpr, .L_ZN2at6native25elementwise_kernel_helperILb0EZZZNS0_12_GLOBAL__N_130modified_bessel_i1_kernel_cudaERNS_18TensorIteratorBaseEENKUlvE_clEvENKUlvE0_clEvEUlfE_NS0_6memory8policies11unroll_baseILi256ESt5arrayIPcLm2EE23TrivialOffsetCalculatorILi1EjESF_NS8_15LoadWithoutCastENS8_16StoreWithoutCastELi4ELi1EEEEEvT0_T1_.num_agpr)
	.set _ZN2at6native29vectorized_elementwise_kernelILi4EZZZNS0_12_GLOBAL__N_130modified_bessel_i1_kernel_cudaERNS_18TensorIteratorBaseEENKUlvE_clEvENKUlvE0_clEvEUlfE_St5arrayIPcLm2EEEEviT0_T1_.numbered_sgpr, max(33, .L_ZN2at6native25elementwise_kernel_helperILb0EZZZNS0_12_GLOBAL__N_130modified_bessel_i1_kernel_cudaERNS_18TensorIteratorBaseEENKUlvE_clEvENKUlvE0_clEvEUlfE_NS0_6memory8policies10vectorizedILi4ESt5arrayIPcLm2EELi4EEEEEvT0_T1_.numbered_sgpr, .L_ZN2at6native25elementwise_kernel_helperILb0EZZZNS0_12_GLOBAL__N_130modified_bessel_i1_kernel_cudaERNS_18TensorIteratorBaseEENKUlvE_clEvENKUlvE0_clEvEUlfE_NS0_6memory8policies11unroll_baseILi256ESt5arrayIPcLm2EE23TrivialOffsetCalculatorILi1EjESF_NS8_15LoadWithoutCastENS8_16StoreWithoutCastELi4ELi1EEEEEvT0_T1_.numbered_sgpr)
	.set _ZN2at6native29vectorized_elementwise_kernelILi4EZZZNS0_12_GLOBAL__N_130modified_bessel_i1_kernel_cudaERNS_18TensorIteratorBaseEENKUlvE_clEvENKUlvE0_clEvEUlfE_St5arrayIPcLm2EEEEviT0_T1_.num_named_barrier, max(0, .L_ZN2at6native25elementwise_kernel_helperILb0EZZZNS0_12_GLOBAL__N_130modified_bessel_i1_kernel_cudaERNS_18TensorIteratorBaseEENKUlvE_clEvENKUlvE0_clEvEUlfE_NS0_6memory8policies10vectorizedILi4ESt5arrayIPcLm2EELi4EEEEEvT0_T1_.num_named_barrier, .L_ZN2at6native25elementwise_kernel_helperILb0EZZZNS0_12_GLOBAL__N_130modified_bessel_i1_kernel_cudaERNS_18TensorIteratorBaseEENKUlvE_clEvENKUlvE0_clEvEUlfE_NS0_6memory8policies11unroll_baseILi256ESt5arrayIPcLm2EE23TrivialOffsetCalculatorILi1EjESF_NS8_15LoadWithoutCastENS8_16StoreWithoutCastELi4ELi1EEEEEvT0_T1_.num_named_barrier)
	.set _ZN2at6native29vectorized_elementwise_kernelILi4EZZZNS0_12_GLOBAL__N_130modified_bessel_i1_kernel_cudaERNS_18TensorIteratorBaseEENKUlvE_clEvENKUlvE0_clEvEUlfE_St5arrayIPcLm2EEEEviT0_T1_.private_seg_size, 0+max(.L_ZN2at6native25elementwise_kernel_helperILb0EZZZNS0_12_GLOBAL__N_130modified_bessel_i1_kernel_cudaERNS_18TensorIteratorBaseEENKUlvE_clEvENKUlvE0_clEvEUlfE_NS0_6memory8policies10vectorizedILi4ESt5arrayIPcLm2EELi4EEEEEvT0_T1_.private_seg_size, .L_ZN2at6native25elementwise_kernel_helperILb0EZZZNS0_12_GLOBAL__N_130modified_bessel_i1_kernel_cudaERNS_18TensorIteratorBaseEENKUlvE_clEvENKUlvE0_clEvEUlfE_NS0_6memory8policies11unroll_baseILi256ESt5arrayIPcLm2EE23TrivialOffsetCalculatorILi1EjESF_NS8_15LoadWithoutCastENS8_16StoreWithoutCastELi4ELi1EEEEEvT0_T1_.private_seg_size)
	.set _ZN2at6native29vectorized_elementwise_kernelILi4EZZZNS0_12_GLOBAL__N_130modified_bessel_i1_kernel_cudaERNS_18TensorIteratorBaseEENKUlvE_clEvENKUlvE0_clEvEUlfE_St5arrayIPcLm2EEEEviT0_T1_.uses_vcc, or(1, .L_ZN2at6native25elementwise_kernel_helperILb0EZZZNS0_12_GLOBAL__N_130modified_bessel_i1_kernel_cudaERNS_18TensorIteratorBaseEENKUlvE_clEvENKUlvE0_clEvEUlfE_NS0_6memory8policies10vectorizedILi4ESt5arrayIPcLm2EELi4EEEEEvT0_T1_.uses_vcc, .L_ZN2at6native25elementwise_kernel_helperILb0EZZZNS0_12_GLOBAL__N_130modified_bessel_i1_kernel_cudaERNS_18TensorIteratorBaseEENKUlvE_clEvENKUlvE0_clEvEUlfE_NS0_6memory8policies11unroll_baseILi256ESt5arrayIPcLm2EE23TrivialOffsetCalculatorILi1EjESF_NS8_15LoadWithoutCastENS8_16StoreWithoutCastELi4ELi1EEEEEvT0_T1_.uses_vcc)
	.set _ZN2at6native29vectorized_elementwise_kernelILi4EZZZNS0_12_GLOBAL__N_130modified_bessel_i1_kernel_cudaERNS_18TensorIteratorBaseEENKUlvE_clEvENKUlvE0_clEvEUlfE_St5arrayIPcLm2EEEEviT0_T1_.uses_flat_scratch, or(0, .L_ZN2at6native25elementwise_kernel_helperILb0EZZZNS0_12_GLOBAL__N_130modified_bessel_i1_kernel_cudaERNS_18TensorIteratorBaseEENKUlvE_clEvENKUlvE0_clEvEUlfE_NS0_6memory8policies10vectorizedILi4ESt5arrayIPcLm2EELi4EEEEEvT0_T1_.uses_flat_scratch, .L_ZN2at6native25elementwise_kernel_helperILb0EZZZNS0_12_GLOBAL__N_130modified_bessel_i1_kernel_cudaERNS_18TensorIteratorBaseEENKUlvE_clEvENKUlvE0_clEvEUlfE_NS0_6memory8policies11unroll_baseILi256ESt5arrayIPcLm2EE23TrivialOffsetCalculatorILi1EjESF_NS8_15LoadWithoutCastENS8_16StoreWithoutCastELi4ELi1EEEEEvT0_T1_.uses_flat_scratch)
	.set _ZN2at6native29vectorized_elementwise_kernelILi4EZZZNS0_12_GLOBAL__N_130modified_bessel_i1_kernel_cudaERNS_18TensorIteratorBaseEENKUlvE_clEvENKUlvE0_clEvEUlfE_St5arrayIPcLm2EEEEviT0_T1_.has_dyn_sized_stack, or(0, .L_ZN2at6native25elementwise_kernel_helperILb0EZZZNS0_12_GLOBAL__N_130modified_bessel_i1_kernel_cudaERNS_18TensorIteratorBaseEENKUlvE_clEvENKUlvE0_clEvEUlfE_NS0_6memory8policies10vectorizedILi4ESt5arrayIPcLm2EELi4EEEEEvT0_T1_.has_dyn_sized_stack, .L_ZN2at6native25elementwise_kernel_helperILb0EZZZNS0_12_GLOBAL__N_130modified_bessel_i1_kernel_cudaERNS_18TensorIteratorBaseEENKUlvE_clEvENKUlvE0_clEvEUlfE_NS0_6memory8policies11unroll_baseILi256ESt5arrayIPcLm2EE23TrivialOffsetCalculatorILi1EjESF_NS8_15LoadWithoutCastENS8_16StoreWithoutCastELi4ELi1EEEEEvT0_T1_.has_dyn_sized_stack)
	.set _ZN2at6native29vectorized_elementwise_kernelILi4EZZZNS0_12_GLOBAL__N_130modified_bessel_i1_kernel_cudaERNS_18TensorIteratorBaseEENKUlvE_clEvENKUlvE0_clEvEUlfE_St5arrayIPcLm2EEEEviT0_T1_.has_recursion, or(0, .L_ZN2at6native25elementwise_kernel_helperILb0EZZZNS0_12_GLOBAL__N_130modified_bessel_i1_kernel_cudaERNS_18TensorIteratorBaseEENKUlvE_clEvENKUlvE0_clEvEUlfE_NS0_6memory8policies10vectorizedILi4ESt5arrayIPcLm2EELi4EEEEEvT0_T1_.has_recursion, .L_ZN2at6native25elementwise_kernel_helperILb0EZZZNS0_12_GLOBAL__N_130modified_bessel_i1_kernel_cudaERNS_18TensorIteratorBaseEENKUlvE_clEvENKUlvE0_clEvEUlfE_NS0_6memory8policies11unroll_baseILi256ESt5arrayIPcLm2EE23TrivialOffsetCalculatorILi1EjESF_NS8_15LoadWithoutCastENS8_16StoreWithoutCastELi4ELi1EEEEEvT0_T1_.has_recursion)
	.set _ZN2at6native29vectorized_elementwise_kernelILi4EZZZNS0_12_GLOBAL__N_130modified_bessel_i1_kernel_cudaERNS_18TensorIteratorBaseEENKUlvE_clEvENKUlvE0_clEvEUlfE_St5arrayIPcLm2EEEEviT0_T1_.has_indirect_call, or(0, .L_ZN2at6native25elementwise_kernel_helperILb0EZZZNS0_12_GLOBAL__N_130modified_bessel_i1_kernel_cudaERNS_18TensorIteratorBaseEENKUlvE_clEvENKUlvE0_clEvEUlfE_NS0_6memory8policies10vectorizedILi4ESt5arrayIPcLm2EELi4EEEEEvT0_T1_.has_indirect_call, .L_ZN2at6native25elementwise_kernel_helperILb0EZZZNS0_12_GLOBAL__N_130modified_bessel_i1_kernel_cudaERNS_18TensorIteratorBaseEENKUlvE_clEvENKUlvE0_clEvEUlfE_NS0_6memory8policies11unroll_baseILi256ESt5arrayIPcLm2EE23TrivialOffsetCalculatorILi1EjESF_NS8_15LoadWithoutCastENS8_16StoreWithoutCastELi4ELi1EEEEEvT0_T1_.has_indirect_call)
	.section	.AMDGPU.csdata,"",@progbits
; Kernel info:
; codeLenInByte = 168
; TotalNumSgprs: 35
; NumVgprs: 32
; ScratchSize: 0
; MemoryBound: 0
; FloatMode: 240
; IeeeMode: 1
; LDSByteSize: 0 bytes/workgroup (compile time only)
; SGPRBlocks: 0
; VGPRBlocks: 3
; NumSGPRsForWavesPerEU: 35
; NumVGPRsForWavesPerEU: 32
; Occupancy: 16
; WaveLimiterHint : 0
; COMPUTE_PGM_RSRC2:SCRATCH_EN: 0
; COMPUTE_PGM_RSRC2:USER_SGPR: 6
; COMPUTE_PGM_RSRC2:TRAP_HANDLER: 0
; COMPUTE_PGM_RSRC2:TGID_X_EN: 1
; COMPUTE_PGM_RSRC2:TGID_Y_EN: 0
; COMPUTE_PGM_RSRC2:TGID_Z_EN: 0
; COMPUTE_PGM_RSRC2:TIDIG_COMP_CNT: 0
	.section	.text._ZN2at6native29vectorized_elementwise_kernelILi2EZZZNS0_12_GLOBAL__N_130modified_bessel_i1_kernel_cudaERNS_18TensorIteratorBaseEENKUlvE_clEvENKUlvE0_clEvEUlfE_St5arrayIPcLm2EEEEviT0_T1_,"axG",@progbits,_ZN2at6native29vectorized_elementwise_kernelILi2EZZZNS0_12_GLOBAL__N_130modified_bessel_i1_kernel_cudaERNS_18TensorIteratorBaseEENKUlvE_clEvENKUlvE0_clEvEUlfE_St5arrayIPcLm2EEEEviT0_T1_,comdat
	.globl	_ZN2at6native29vectorized_elementwise_kernelILi2EZZZNS0_12_GLOBAL__N_130modified_bessel_i1_kernel_cudaERNS_18TensorIteratorBaseEENKUlvE_clEvENKUlvE0_clEvEUlfE_St5arrayIPcLm2EEEEviT0_T1_ ; -- Begin function _ZN2at6native29vectorized_elementwise_kernelILi2EZZZNS0_12_GLOBAL__N_130modified_bessel_i1_kernel_cudaERNS_18TensorIteratorBaseEENKUlvE_clEvENKUlvE0_clEvEUlfE_St5arrayIPcLm2EEEEviT0_T1_
	.p2align	8
	.type	_ZN2at6native29vectorized_elementwise_kernelILi2EZZZNS0_12_GLOBAL__N_130modified_bessel_i1_kernel_cudaERNS_18TensorIteratorBaseEENKUlvE_clEvENKUlvE0_clEvEUlfE_St5arrayIPcLm2EEEEviT0_T1_,@function
_ZN2at6native29vectorized_elementwise_kernelILi2EZZZNS0_12_GLOBAL__N_130modified_bessel_i1_kernel_cudaERNS_18TensorIteratorBaseEENKUlvE_clEvENKUlvE0_clEvEUlfE_St5arrayIPcLm2EEEEviT0_T1_: ; @_ZN2at6native29vectorized_elementwise_kernelILi2EZZZNS0_12_GLOBAL__N_130modified_bessel_i1_kernel_cudaERNS_18TensorIteratorBaseEENKUlvE_clEvENKUlvE0_clEvEUlfE_St5arrayIPcLm2EEEEviT0_T1_
; %bb.0:
	s_add_u32 s0, s0, s7
	s_clause 0x1
	s_load_dword s7, s[4:5], 0x0
	s_load_dwordx4 s[8:11], s[4:5], 0x8
	s_addc_u32 s1, s1, 0
	s_lshl_b32 s4, s6, 10
	s_mov_b32 s5, -1
	s_mov_b32 s32, 0
	s_waitcnt lgkmcnt(0)
	s_sub_i32 s7, s7, s4
	s_cmpk_gt_i32 s7, 0x3ff
	s_cbranch_scc1 .LBB15_3
; %bb.1:
	s_and_b32 vcc_lo, exec_lo, s5
	s_cbranch_vccnz .LBB15_52
.LBB15_2:
	s_endpgm
.LBB15_3:
	s_ashr_i32 s5, s4, 31
	v_lshlrev_b32_e32 v7, 3, v0
	s_lshl_b64 s[12:13], s[4:5], 2
                                        ; implicit-def: $vgpr3
	s_add_u32 s4, s10, s12
	s_addc_u32 s5, s11, s13
	v_add_co_u32 v1, s14, s4, v7
	v_add_co_ci_u32_e64 v2, null, s5, 0, s14
	global_load_dwordx2 v[5:6], v7, s[4:5]
	v_add_co_u32 v1, vcc_lo, 0x800, v1
	v_add_co_ci_u32_e64 v2, null, 0, v2, vcc_lo
	global_load_dwordx2 v[1:2], v[1:2], off
	s_mov_b32 s5, exec_lo
	s_waitcnt vmcnt(1)
	v_mul_f32_e64 v4, 0x3fb8aa3b, |v5|
	v_cmpx_ge_f32_e64 0x41000000, |v5|
	s_xor_b32 s5, exec_lo, s5
	s_cbranch_execz .LBB15_9
; %bb.4:
	v_fma_f32 v3, |v5|, 0.5, -2.0
	s_mov_b32 s4, 0x224cf950
	v_rndne_f32_e32 v10, v4
	v_fma_f32 v11, 0x3fb8aa3b, |v5|, -v4
	v_cmp_ngt_f32_e64 vcc_lo, 0xc2ce8ed0, |v5|
	v_fmaak_f32 v8, s4, v3, 0xa3c2be86
	v_cmp_nlt_f32_e64 s4, 0x42b17218, |v5|
	v_sub_f32_e32 v4, v4, v10
	v_fma_f32 v11, 0x32a5705f, |v5|, v11
	v_fmaak_f32 v9, v3, v8, 0xa24cf950
	v_add_f32_e32 v4, v4, v11
	v_add_f32_e32 v9, 0x25331f1f, v9
	v_exp_f32_e32 v4, v4
	v_fma_f32 v8, v3, v9, -v8
	v_add_f32_e32 v8, 0xa69f5554, v8
	v_fma_f32 v9, v3, v8, -v9
	v_add_f32_e32 v9, 0x2808ebf8, v9
	;; [unrolled: 2-line block ×25, first 2 shown]
	v_fma_f32 v3, v3, v8, -v9
	v_cvt_i32_f32_e32 v8, v10
	v_add_f32_e32 v3, 0x3e81531c, v3
	v_ldexp_f32 v4, v4, v8
	v_sub_f32_e32 v3, v3, v9
	v_cndmask_b32_e32 v8, 0, v4, vcc_lo
	v_mul_f32_e32 v3, 0.5, v3
	v_cndmask_b32_e64 v8, 0x7f800000, v8, s4
	s_mov_b32 s4, exec_lo
	v_mul_f32_e64 v4, |v5|, v3
                                        ; implicit-def: $vgpr3
	v_cmpx_ngt_f32_e32 0, v5
	s_xor_b32 s4, exec_lo, s4
; %bb.5:
	v_mul_f32_e32 v3, v8, v4
                                        ; implicit-def: $vgpr8
                                        ; implicit-def: $vgpr4
; %bb.6:
	s_andn2_saveexec_b32 s4, s4
; %bb.7:
	v_mul_f32_e64 v3, v4, -v8
; %bb.8:
	s_or_b32 exec_lo, exec_lo, s4
                                        ; implicit-def: $vgpr4
.LBB15_9:
	s_andn2_saveexec_b32 s5, s5
	s_cbranch_execz .LBB15_15
; %bb.10:
	v_and_b32_e32 v3, 0x7fffffff, v5
	s_mov_b32 s4, 0x230aab6e
	v_div_scale_f32 v8, null, v3, v3, 0x42000000
	v_div_scale_f32 v3, vcc_lo, 0x42000000, v3, 0x42000000
	v_rcp_f32_e32 v9, v8
	v_fma_f32 v10, -v8, v9, 1.0
	v_fmac_f32_e32 v9, v10, v9
	v_mul_f32_e32 v10, v3, v9
	v_fma_f32 v11, -v8, v10, v3
	v_fmac_f32_e32 v10, v11, v9
	v_fma_f32 v11, 0x3fb8aa3b, |v5|, -v4
	v_fma_f32 v3, -v8, v10, v3
	v_fma_f32 v11, 0x32a5705f, |v5|, v11
	v_div_fmas_f32 v3, v3, v9, v10
	v_rndne_f32_e32 v10, v4
	v_cmp_ngt_f32_e64 vcc_lo, 0xc2ce8ed0, |v5|
	v_div_fixup_f32 v3, v3, |v5|, 0x42000000
	v_sub_f32_e32 v4, v4, v10
	v_cvt_i32_f32_e32 v10, v10
	v_add_f32_e32 v3, -2.0, v3
	v_add_f32_e32 v4, v4, v11
	v_fmaak_f32 v8, s4, v3, 0x22a2dc57
	v_exp_f32_e32 v4, v4
	v_cmp_nlt_f32_e64 s4, 0x42b17218, |v5|
	v_fmaak_f32 v9, v3, v8, 0xa30aab6e
	v_add_f32_e32 v9, 0xa456751e, v9
	v_ldexp_f32 v4, v4, v10
	v_fma_f32 v8, v3, v9, -v8
	v_cndmask_b32_e32 v4, 0, v4, vcc_lo
	v_add_f32_e32 v8, 0xa4140365, v8
	v_cndmask_b32_e64 v4, 0x7f800000, v4, s4
	s_mov_b32 s4, exec_lo
	v_fma_f32 v9, v3, v8, -v9
	v_add_f32_e32 v9, 0x25aac8b0, v9
	v_fma_f32 v8, v3, v9, -v8
	v_add_f32_e32 v8, 0x25beb473, v8
	;; [unrolled: 2-line block ×21, first 2 shown]
	v_sub_f32_e32 v8, v3, v9
	v_mul_f32_e64 v9, 0x4f800000, |v5|
                                        ; implicit-def: $vgpr3
	v_cmpx_ngt_f32_e32 0, v5
	s_xor_b32 s14, exec_lo, s4
	s_cbranch_execz .LBB15_12
; %bb.11:
	v_cmp_gt_f32_e64 vcc_lo, 0xf800000, |v5|
	v_mul_f32_e32 v8, 0.5, v8
	v_cndmask_b32_e64 v3, |v5|, v9, vcc_lo
	v_mul_f32_e32 v4, v4, v8
	v_sqrt_f32_e32 v9, v3
	v_add_nc_u32_e32 v10, -1, v9
	v_add_nc_u32_e32 v11, 1, v9
	v_fma_f32 v12, -v10, v9, v3
	v_fma_f32 v13, -v11, v9, v3
	v_cmp_ge_f32_e64 s4, 0, v12
	v_cndmask_b32_e64 v9, v9, v10, s4
	v_cmp_lt_f32_e64 s4, 0, v13
	v_cndmask_b32_e64 v9, v9, v11, s4
	v_mul_f32_e32 v10, 0x37800000, v9
	v_cndmask_b32_e32 v9, v9, v10, vcc_lo
	v_cmp_class_f32_e64 vcc_lo, v3, 0x260
	v_cndmask_b32_e32 v3, v9, v3, vcc_lo
	v_div_scale_f32 v8, null, v3, v3, v4
	v_rcp_f32_e32 v9, v8
	v_fma_f32 v10, -v8, v9, 1.0
	v_fmac_f32_e32 v9, v10, v9
	v_div_scale_f32 v10, vcc_lo, v4, v3, v4
	v_mul_f32_e32 v11, v10, v9
	v_fma_f32 v12, -v8, v11, v10
	v_fmac_f32_e32 v11, v12, v9
	v_fma_f32 v8, -v8, v11, v10
	v_div_fmas_f32 v8, v8, v9, v11
                                        ; implicit-def: $vgpr9
	v_div_fixup_f32 v3, v8, v3, v4
                                        ; implicit-def: $vgpr8
                                        ; implicit-def: $vgpr4
.LBB15_12:
	s_andn2_saveexec_b32 s14, s14
	s_cbranch_execz .LBB15_14
; %bb.13:
	v_cmp_gt_f32_e64 vcc_lo, 0xf800000, |v5|
	v_mul_f32_e32 v8, -0.5, v8
	v_cndmask_b32_e64 v3, |v5|, v9, vcc_lo
	v_mul_f32_e32 v4, v4, v8
	v_sqrt_f32_e32 v5, v3
	v_add_nc_u32_e32 v9, -1, v5
	v_add_nc_u32_e32 v10, 1, v5
	v_fma_f32 v11, -v9, v5, v3
	v_fma_f32 v12, -v10, v5, v3
	v_cmp_ge_f32_e64 s4, 0, v11
	v_cndmask_b32_e64 v5, v5, v9, s4
	v_cmp_lt_f32_e64 s4, 0, v12
	v_cndmask_b32_e64 v5, v5, v10, s4
	v_mul_f32_e32 v9, 0x37800000, v5
	v_cndmask_b32_e32 v5, v5, v9, vcc_lo
	v_cmp_class_f32_e64 vcc_lo, v3, 0x260
	v_cndmask_b32_e32 v3, v5, v3, vcc_lo
	v_div_scale_f32 v5, null, v3, v3, v4
	v_rcp_f32_e32 v8, v5
	v_fma_f32 v9, -v5, v8, 1.0
	v_fmac_f32_e32 v8, v9, v8
	v_div_scale_f32 v9, vcc_lo, v4, v3, v4
	v_mul_f32_e32 v10, v9, v8
	v_fma_f32 v11, -v5, v10, v9
	v_fmac_f32_e32 v10, v11, v8
	v_fma_f32 v5, -v5, v10, v9
	v_div_fmas_f32 v5, v5, v8, v10
	v_div_fixup_f32 v3, v5, v3, v4
.LBB15_14:
	s_or_b32 exec_lo, exec_lo, s14
.LBB15_15:
	s_or_b32 exec_lo, exec_lo, s5
	v_mul_f32_e64 v5, 0x3fb8aa3b, |v6|
	s_mov_b32 s5, exec_lo
	v_cmpx_ge_f32_e64 0x41000000, |v6|
	s_xor_b32 s5, exec_lo, s5
	s_cbranch_execz .LBB15_21
; %bb.16:
	v_fma_f32 v4, |v6|, 0.5, -2.0
	s_mov_b32 s4, 0x224cf950
	v_rndne_f32_e32 v10, v5
	v_fma_f32 v11, 0x3fb8aa3b, |v6|, -v5
	v_cmp_ngt_f32_e64 vcc_lo, 0xc2ce8ed0, |v6|
	v_fmaak_f32 v8, s4, v4, 0xa3c2be86
	v_cmp_nlt_f32_e64 s4, 0x42b17218, |v6|
	v_sub_f32_e32 v5, v5, v10
	v_fma_f32 v11, 0x32a5705f, |v6|, v11
	v_fmaak_f32 v9, v4, v8, 0xa24cf950
	v_add_f32_e32 v5, v5, v11
	v_add_f32_e32 v9, 0x25331f1f, v9
	v_exp_f32_e32 v5, v5
	v_fma_f32 v8, v4, v9, -v8
	v_add_f32_e32 v8, 0xa69f5554, v8
	v_fma_f32 v9, v4, v8, -v9
	v_add_f32_e32 v9, 0x2808ebf8, v9
	;; [unrolled: 2-line block ×25, first 2 shown]
	v_fma_f32 v4, v4, v8, -v9
	v_cvt_i32_f32_e32 v8, v10
	v_add_f32_e32 v4, 0x3e81531c, v4
	v_ldexp_f32 v5, v5, v8
	v_sub_f32_e32 v4, v4, v9
	v_cndmask_b32_e32 v8, 0, v5, vcc_lo
	v_cmp_ngt_f32_e32 vcc_lo, 0, v6
	v_mul_f32_e32 v4, 0.5, v4
	v_mul_f32_e64 v5, |v6|, v4
	v_cndmask_b32_e64 v6, 0x7f800000, v8, s4
	s_and_saveexec_b32 s4, vcc_lo
	s_xor_b32 s4, exec_lo, s4
; %bb.17:
	v_mul_f32_e32 v4, v6, v5
                                        ; implicit-def: $vgpr6
                                        ; implicit-def: $vgpr5
; %bb.18:
	s_andn2_saveexec_b32 s4, s4
; %bb.19:
	v_mul_f32_e64 v4, v5, -v6
; %bb.20:
	s_or_b32 exec_lo, exec_lo, s4
                                        ; implicit-def: $vgpr5_vgpr6
                                        ; implicit-def: $vgpr5
.LBB15_21:
	s_andn2_saveexec_b32 s5, s5
	s_cbranch_execz .LBB15_27
; %bb.22:
	v_and_b32_e32 v4, 0x7fffffff, v6
	s_mov_b32 s4, 0x230aab6e
	v_div_scale_f32 v8, null, v4, v4, 0x42000000
	v_div_scale_f32 v4, vcc_lo, 0x42000000, v4, 0x42000000
	v_rcp_f32_e32 v9, v8
	v_fma_f32 v10, -v8, v9, 1.0
	v_fmac_f32_e32 v9, v10, v9
	v_mul_f32_e32 v10, v4, v9
	v_fma_f32 v11, -v8, v10, v4
	v_fmac_f32_e32 v10, v11, v9
	v_fma_f32 v11, 0x3fb8aa3b, |v6|, -v5
	v_fma_f32 v4, -v8, v10, v4
	v_fma_f32 v11, 0x32a5705f, |v6|, v11
	v_div_fmas_f32 v4, v4, v9, v10
	v_rndne_f32_e32 v10, v5
	v_cmp_ngt_f32_e64 vcc_lo, 0xc2ce8ed0, |v6|
	v_div_fixup_f32 v4, v4, |v6|, 0x42000000
	v_sub_f32_e32 v5, v5, v10
	v_cvt_i32_f32_e32 v10, v10
	v_add_f32_e32 v4, -2.0, v4
	v_add_f32_e32 v5, v5, v11
	v_fmaak_f32 v8, s4, v4, 0x22a2dc57
	v_exp_f32_e32 v5, v5
	v_cmp_nlt_f32_e64 s4, 0x42b17218, |v6|
	v_fmaak_f32 v9, v4, v8, 0xa30aab6e
	v_add_f32_e32 v9, 0xa456751e, v9
	v_ldexp_f32 v5, v5, v10
	v_fma_f32 v8, v4, v9, -v8
	v_cndmask_b32_e32 v5, 0, v5, vcc_lo
	v_add_f32_e32 v8, 0xa4140365, v8
	v_cndmask_b32_e64 v5, 0x7f800000, v5, s4
	s_mov_b32 s4, exec_lo
	v_fma_f32 v9, v4, v8, -v9
	v_add_f32_e32 v9, 0x25aac8b0, v9
	v_fma_f32 v8, v4, v9, -v8
	v_add_f32_e32 v8, 0x25beb473, v8
	;; [unrolled: 2-line block ×21, first 2 shown]
	v_sub_f32_e32 v8, v4, v9
	v_mul_f32_e64 v9, 0x4f800000, |v6|
	v_cmpx_ngt_f32_e32 0, v6
	s_xor_b32 s14, exec_lo, s4
	s_cbranch_execz .LBB15_24
; %bb.23:
	v_cmp_gt_f32_e64 vcc_lo, 0xf800000, |v6|
	v_mul_f32_e32 v8, 0.5, v8
	v_cndmask_b32_e64 v4, |v6|, v9, vcc_lo
	v_mul_f32_e32 v5, v5, v8
	v_sqrt_f32_e32 v6, v4
	v_add_nc_u32_e32 v9, -1, v6
	v_add_nc_u32_e32 v10, 1, v6
	v_fma_f32 v11, -v9, v6, v4
	v_fma_f32 v12, -v10, v6, v4
	v_cmp_ge_f32_e64 s4, 0, v11
	v_cndmask_b32_e64 v6, v6, v9, s4
	v_cmp_lt_f32_e64 s4, 0, v12
	v_cndmask_b32_e64 v6, v6, v10, s4
	v_mul_f32_e32 v9, 0x37800000, v6
	v_cndmask_b32_e32 v6, v6, v9, vcc_lo
	v_cmp_class_f32_e64 vcc_lo, v4, 0x260
	v_cndmask_b32_e32 v4, v6, v4, vcc_lo
	v_div_scale_f32 v6, null, v4, v4, v5
	v_rcp_f32_e32 v8, v6
	v_fma_f32 v9, -v6, v8, 1.0
	v_fmac_f32_e32 v8, v9, v8
	v_div_scale_f32 v9, vcc_lo, v5, v4, v5
	v_mul_f32_e32 v10, v9, v8
	v_fma_f32 v11, -v6, v10, v9
	v_fmac_f32_e32 v10, v11, v8
	v_fma_f32 v6, -v6, v10, v9
                                        ; implicit-def: $vgpr9
	v_div_fmas_f32 v6, v6, v8, v10
                                        ; implicit-def: $vgpr8
	v_div_fixup_f32 v4, v6, v4, v5
                                        ; implicit-def: $vgpr5_vgpr6
                                        ; implicit-def: $vgpr5
.LBB15_24:
	s_andn2_saveexec_b32 s14, s14
	s_cbranch_execz .LBB15_26
; %bb.25:
	v_cmp_gt_f32_e64 vcc_lo, 0xf800000, |v6|
	v_mul_f32_e32 v8, -0.5, v8
	v_cndmask_b32_e64 v4, |v6|, v9, vcc_lo
	v_mul_f32_e32 v5, v5, v8
	v_sqrt_f32_e32 v6, v4
	v_add_nc_u32_e32 v9, -1, v6
	v_add_nc_u32_e32 v10, 1, v6
	v_fma_f32 v11, -v9, v6, v4
	v_fma_f32 v12, -v10, v6, v4
	v_cmp_ge_f32_e64 s4, 0, v11
	v_cndmask_b32_e64 v6, v6, v9, s4
	v_cmp_lt_f32_e64 s4, 0, v12
	v_cndmask_b32_e64 v6, v6, v10, s4
	v_mul_f32_e32 v9, 0x37800000, v6
	v_cndmask_b32_e32 v6, v6, v9, vcc_lo
	v_cmp_class_f32_e64 vcc_lo, v4, 0x260
	v_cndmask_b32_e32 v4, v6, v4, vcc_lo
	v_div_scale_f32 v6, null, v4, v4, v5
	v_rcp_f32_e32 v8, v6
	v_fma_f32 v9, -v6, v8, 1.0
	v_fmac_f32_e32 v8, v9, v8
	v_div_scale_f32 v9, vcc_lo, v5, v4, v5
	v_mul_f32_e32 v10, v9, v8
	v_fma_f32 v11, -v6, v10, v9
	v_fmac_f32_e32 v10, v11, v8
	v_fma_f32 v6, -v6, v10, v9
	v_div_fmas_f32 v6, v6, v8, v10
	v_div_fixup_f32 v4, v6, v4, v5
.LBB15_26:
	s_or_b32 exec_lo, exec_lo, s14
.LBB15_27:
	s_or_b32 exec_lo, exec_lo, s5
	s_waitcnt vmcnt(0)
	v_mul_f32_e64 v6, 0x3fb8aa3b, |v1|
	s_mov_b32 s5, exec_lo
                                        ; implicit-def: $vgpr5
	v_cmpx_ge_f32_e64 0x41000000, |v1|
	s_xor_b32 s5, exec_lo, s5
	s_cbranch_execz .LBB15_33
; %bb.28:
	v_fma_f32 v5, |v1|, 0.5, -2.0
	s_mov_b32 s4, 0x224cf950
	v_rndne_f32_e32 v10, v6
	v_fma_f32 v11, 0x3fb8aa3b, |v1|, -v6
	v_cmp_ngt_f32_e64 vcc_lo, 0xc2ce8ed0, |v1|
	v_fmaak_f32 v8, s4, v5, 0xa3c2be86
	v_cmp_nlt_f32_e64 s4, 0x42b17218, |v1|
	v_sub_f32_e32 v6, v6, v10
	v_fma_f32 v11, 0x32a5705f, |v1|, v11
	v_fmaak_f32 v9, v5, v8, 0xa24cf950
	v_add_f32_e32 v6, v6, v11
	v_add_f32_e32 v9, 0x25331f1f, v9
	v_exp_f32_e32 v6, v6
	v_fma_f32 v8, v5, v9, -v8
	v_add_f32_e32 v8, 0xa69f5554, v8
	v_fma_f32 v9, v5, v8, -v9
	v_add_f32_e32 v9, 0x2808ebf8, v9
	;; [unrolled: 2-line block ×25, first 2 shown]
	v_fma_f32 v5, v5, v8, -v9
	v_cvt_i32_f32_e32 v8, v10
	v_add_f32_e32 v5, 0x3e81531c, v5
	v_ldexp_f32 v6, v6, v8
	v_sub_f32_e32 v5, v5, v9
	v_cndmask_b32_e32 v8, 0, v6, vcc_lo
	v_mul_f32_e32 v5, 0.5, v5
	v_cndmask_b32_e64 v8, 0x7f800000, v8, s4
	s_mov_b32 s4, exec_lo
	v_mul_f32_e64 v6, |v1|, v5
                                        ; implicit-def: $vgpr5
	v_cmpx_ngt_f32_e32 0, v1
	s_xor_b32 s4, exec_lo, s4
; %bb.29:
	v_mul_f32_e32 v5, v8, v6
                                        ; implicit-def: $vgpr8
                                        ; implicit-def: $vgpr6
; %bb.30:
	s_andn2_saveexec_b32 s4, s4
; %bb.31:
	v_mul_f32_e64 v5, v6, -v8
; %bb.32:
	s_or_b32 exec_lo, exec_lo, s4
                                        ; implicit-def: $vgpr6
.LBB15_33:
	s_andn2_saveexec_b32 s5, s5
	s_cbranch_execz .LBB15_39
; %bb.34:
	v_and_b32_e32 v5, 0x7fffffff, v1
	s_mov_b32 s4, 0x230aab6e
	v_div_scale_f32 v8, null, v5, v5, 0x42000000
	v_div_scale_f32 v5, vcc_lo, 0x42000000, v5, 0x42000000
	v_rcp_f32_e32 v9, v8
	v_fma_f32 v10, -v8, v9, 1.0
	v_fmac_f32_e32 v9, v10, v9
	v_mul_f32_e32 v10, v5, v9
	v_fma_f32 v11, -v8, v10, v5
	v_fmac_f32_e32 v10, v11, v9
	v_fma_f32 v11, 0x3fb8aa3b, |v1|, -v6
	v_fma_f32 v5, -v8, v10, v5
	v_fma_f32 v11, 0x32a5705f, |v1|, v11
	v_div_fmas_f32 v5, v5, v9, v10
	v_rndne_f32_e32 v10, v6
	v_cmp_ngt_f32_e64 vcc_lo, 0xc2ce8ed0, |v1|
	v_div_fixup_f32 v5, v5, |v1|, 0x42000000
	v_sub_f32_e32 v6, v6, v10
	v_cvt_i32_f32_e32 v10, v10
	v_add_f32_e32 v5, -2.0, v5
	v_add_f32_e32 v6, v6, v11
	v_fmaak_f32 v8, s4, v5, 0x22a2dc57
	v_exp_f32_e32 v6, v6
	v_cmp_nlt_f32_e64 s4, 0x42b17218, |v1|
	v_fmaak_f32 v9, v5, v8, 0xa30aab6e
	v_add_f32_e32 v9, 0xa456751e, v9
	v_ldexp_f32 v6, v6, v10
	v_fma_f32 v8, v5, v9, -v8
	v_cndmask_b32_e32 v6, 0, v6, vcc_lo
	v_add_f32_e32 v8, 0xa4140365, v8
	v_cndmask_b32_e64 v6, 0x7f800000, v6, s4
	s_mov_b32 s4, exec_lo
	v_fma_f32 v9, v5, v8, -v9
	v_add_f32_e32 v9, 0x25aac8b0, v9
	v_fma_f32 v8, v5, v9, -v8
	v_add_f32_e32 v8, 0x25beb473, v8
	;; [unrolled: 2-line block ×21, first 2 shown]
	v_sub_f32_e32 v8, v5, v9
	v_mul_f32_e64 v9, 0x4f800000, |v1|
                                        ; implicit-def: $vgpr5
	v_cmpx_ngt_f32_e32 0, v1
	s_xor_b32 s14, exec_lo, s4
	s_cbranch_execz .LBB15_36
; %bb.35:
	v_cmp_gt_f32_e64 vcc_lo, 0xf800000, |v1|
	v_mul_f32_e32 v8, 0.5, v8
	v_cndmask_b32_e64 v5, |v1|, v9, vcc_lo
	v_mul_f32_e32 v6, v6, v8
	v_sqrt_f32_e32 v9, v5
	v_add_nc_u32_e32 v10, -1, v9
	v_add_nc_u32_e32 v11, 1, v9
	v_fma_f32 v12, -v10, v9, v5
	v_fma_f32 v13, -v11, v9, v5
	v_cmp_ge_f32_e64 s4, 0, v12
	v_cndmask_b32_e64 v9, v9, v10, s4
	v_cmp_lt_f32_e64 s4, 0, v13
	v_cndmask_b32_e64 v9, v9, v11, s4
	v_mul_f32_e32 v10, 0x37800000, v9
	v_cndmask_b32_e32 v9, v9, v10, vcc_lo
	v_cmp_class_f32_e64 vcc_lo, v5, 0x260
	v_cndmask_b32_e32 v5, v9, v5, vcc_lo
	v_div_scale_f32 v8, null, v5, v5, v6
	v_rcp_f32_e32 v9, v8
	v_fma_f32 v10, -v8, v9, 1.0
	v_fmac_f32_e32 v9, v10, v9
	v_div_scale_f32 v10, vcc_lo, v6, v5, v6
	v_mul_f32_e32 v11, v10, v9
	v_fma_f32 v12, -v8, v11, v10
	v_fmac_f32_e32 v11, v12, v9
	v_fma_f32 v8, -v8, v11, v10
	v_div_fmas_f32 v8, v8, v9, v11
                                        ; implicit-def: $vgpr9
	v_div_fixup_f32 v5, v8, v5, v6
                                        ; implicit-def: $vgpr8
                                        ; implicit-def: $vgpr6
.LBB15_36:
	s_andn2_saveexec_b32 s14, s14
	s_cbranch_execz .LBB15_38
; %bb.37:
	v_cmp_gt_f32_e64 vcc_lo, 0xf800000, |v1|
	v_mul_f32_e32 v8, -0.5, v8
	v_cndmask_b32_e64 v1, |v1|, v9, vcc_lo
	v_mul_f32_e32 v6, v6, v8
	v_sqrt_f32_e32 v5, v1
	v_add_nc_u32_e32 v9, -1, v5
	v_add_nc_u32_e32 v10, 1, v5
	v_fma_f32 v11, -v9, v5, v1
	v_fma_f32 v12, -v10, v5, v1
	v_cmp_ge_f32_e64 s4, 0, v11
	v_cndmask_b32_e64 v5, v5, v9, s4
	v_cmp_lt_f32_e64 s4, 0, v12
	v_cndmask_b32_e64 v5, v5, v10, s4
	v_mul_f32_e32 v9, 0x37800000, v5
	v_cndmask_b32_e32 v5, v5, v9, vcc_lo
	v_cmp_class_f32_e64 vcc_lo, v1, 0x260
	v_cndmask_b32_e32 v1, v5, v1, vcc_lo
	v_div_scale_f32 v5, null, v1, v1, v6
	v_rcp_f32_e32 v8, v5
	v_fma_f32 v9, -v5, v8, 1.0
	v_fmac_f32_e32 v8, v9, v8
	v_div_scale_f32 v9, vcc_lo, v6, v1, v6
	v_mul_f32_e32 v10, v9, v8
	v_fma_f32 v11, -v5, v10, v9
	v_fmac_f32_e32 v10, v11, v8
	v_fma_f32 v5, -v5, v10, v9
	v_div_fmas_f32 v5, v5, v8, v10
	v_div_fixup_f32 v5, v5, v1, v6
.LBB15_38:
	s_or_b32 exec_lo, exec_lo, s14
.LBB15_39:
	s_or_b32 exec_lo, exec_lo, s5
	v_mul_f32_e64 v1, 0x3fb8aa3b, |v2|
	s_mov_b32 s5, exec_lo
	v_cmpx_ge_f32_e64 0x41000000, |v2|
	s_xor_b32 s5, exec_lo, s5
	s_cbranch_execz .LBB15_45
; %bb.40:
	v_fma_f32 v6, |v2|, 0.5, -2.0
	s_mov_b32 s4, 0x224cf950
	v_rndne_f32_e32 v10, v1
	v_fma_f32 v11, 0x3fb8aa3b, |v2|, -v1
	v_cmp_ngt_f32_e64 vcc_lo, 0xc2ce8ed0, |v2|
	v_fmaak_f32 v8, s4, v6, 0xa3c2be86
	v_cmp_nlt_f32_e64 s4, 0x42b17218, |v2|
	v_sub_f32_e32 v1, v1, v10
	v_fma_f32 v11, 0x32a5705f, |v2|, v11
	v_fmaak_f32 v9, v6, v8, 0xa24cf950
	v_add_f32_e32 v1, v1, v11
	v_add_f32_e32 v9, 0x25331f1f, v9
	v_exp_f32_e32 v1, v1
	v_fma_f32 v8, v6, v9, -v8
	v_add_f32_e32 v8, 0xa69f5554, v8
	v_fma_f32 v9, v6, v8, -v9
	v_add_f32_e32 v9, 0x2808ebf8, v9
	;; [unrolled: 2-line block ×25, first 2 shown]
	v_fma_f32 v6, v6, v8, -v9
	v_cvt_i32_f32_e32 v8, v10
	v_add_f32_e32 v6, 0x3e81531c, v6
	v_ldexp_f32 v1, v1, v8
	v_sub_f32_e32 v6, v6, v9
	v_cndmask_b32_e32 v8, 0, v1, vcc_lo
	v_cmp_ngt_f32_e32 vcc_lo, 0, v2
	v_mul_f32_e32 v6, 0.5, v6
	v_mul_f32_e64 v1, |v2|, v6
	v_cndmask_b32_e64 v2, 0x7f800000, v8, s4
	s_and_saveexec_b32 s4, vcc_lo
	s_xor_b32 s4, exec_lo, s4
; %bb.41:
	v_mul_f32_e32 v6, v2, v1
                                        ; implicit-def: $vgpr2
                                        ; implicit-def: $vgpr1
; %bb.42:
	s_andn2_saveexec_b32 s4, s4
; %bb.43:
	v_mul_f32_e64 v6, v1, -v2
; %bb.44:
	s_or_b32 exec_lo, exec_lo, s4
                                        ; implicit-def: $vgpr1_vgpr2
                                        ; implicit-def: $vgpr1
.LBB15_45:
	s_andn2_saveexec_b32 s5, s5
	s_cbranch_execz .LBB15_51
; %bb.46:
	v_and_b32_e32 v6, 0x7fffffff, v2
	s_mov_b32 s4, 0x230aab6e
	v_div_scale_f32 v8, null, v6, v6, 0x42000000
	v_div_scale_f32 v6, vcc_lo, 0x42000000, v6, 0x42000000
	v_rcp_f32_e32 v9, v8
	v_fma_f32 v10, -v8, v9, 1.0
	v_fmac_f32_e32 v9, v10, v9
	v_mul_f32_e32 v10, v6, v9
	v_fma_f32 v11, -v8, v10, v6
	v_fmac_f32_e32 v10, v11, v9
	v_fma_f32 v11, 0x3fb8aa3b, |v2|, -v1
	v_fma_f32 v6, -v8, v10, v6
	v_fma_f32 v11, 0x32a5705f, |v2|, v11
	v_div_fmas_f32 v6, v6, v9, v10
	v_rndne_f32_e32 v10, v1
	v_cmp_ngt_f32_e64 vcc_lo, 0xc2ce8ed0, |v2|
	v_div_fixup_f32 v6, v6, |v2|, 0x42000000
	v_sub_f32_e32 v1, v1, v10
	v_cvt_i32_f32_e32 v10, v10
	v_add_f32_e32 v6, -2.0, v6
	v_add_f32_e32 v1, v1, v11
	v_fmaak_f32 v8, s4, v6, 0x22a2dc57
	v_exp_f32_e32 v1, v1
	v_cmp_nlt_f32_e64 s4, 0x42b17218, |v2|
	v_fmaak_f32 v9, v6, v8, 0xa30aab6e
	v_add_f32_e32 v9, 0xa456751e, v9
	v_ldexp_f32 v1, v1, v10
	v_fma_f32 v8, v6, v9, -v8
	v_cndmask_b32_e32 v1, 0, v1, vcc_lo
	v_add_f32_e32 v8, 0xa4140365, v8
	v_cndmask_b32_e64 v1, 0x7f800000, v1, s4
	s_mov_b32 s4, exec_lo
	v_fma_f32 v9, v6, v8, -v9
	v_add_f32_e32 v9, 0x25aac8b0, v9
	v_fma_f32 v8, v6, v9, -v8
	v_add_f32_e32 v8, 0x25beb473, v8
	;; [unrolled: 2-line block ×21, first 2 shown]
	v_sub_f32_e32 v8, v6, v9
	v_mul_f32_e64 v9, 0x4f800000, |v2|
	v_cmpx_ngt_f32_e32 0, v2
	s_xor_b32 s14, exec_lo, s4
	s_cbranch_execz .LBB15_48
; %bb.47:
	v_cmp_gt_f32_e64 vcc_lo, 0xf800000, |v2|
	v_mul_f32_e32 v8, 0.5, v8
	v_cndmask_b32_e64 v2, |v2|, v9, vcc_lo
	v_mul_f32_e32 v1, v1, v8
	v_sqrt_f32_e32 v6, v2
	v_add_nc_u32_e32 v9, -1, v6
	v_add_nc_u32_e32 v10, 1, v6
	v_fma_f32 v11, -v9, v6, v2
	v_fma_f32 v12, -v10, v6, v2
	v_cmp_ge_f32_e64 s4, 0, v11
	v_cndmask_b32_e64 v6, v6, v9, s4
	v_cmp_lt_f32_e64 s4, 0, v12
	v_cndmask_b32_e64 v6, v6, v10, s4
	v_mul_f32_e32 v9, 0x37800000, v6
	v_cndmask_b32_e32 v6, v6, v9, vcc_lo
	v_cmp_class_f32_e64 vcc_lo, v2, 0x260
	v_cndmask_b32_e32 v2, v6, v2, vcc_lo
	v_div_scale_f32 v6, null, v2, v2, v1
	v_rcp_f32_e32 v8, v6
	v_fma_f32 v9, -v6, v8, 1.0
	v_fmac_f32_e32 v8, v9, v8
	v_div_scale_f32 v9, vcc_lo, v1, v2, v1
	v_mul_f32_e32 v10, v9, v8
	v_fma_f32 v11, -v6, v10, v9
	v_fmac_f32_e32 v10, v11, v8
	v_fma_f32 v6, -v6, v10, v9
                                        ; implicit-def: $vgpr9
	v_div_fmas_f32 v6, v6, v8, v10
                                        ; implicit-def: $vgpr8
	v_div_fixup_f32 v6, v6, v2, v1
                                        ; implicit-def: $vgpr1_vgpr2
                                        ; implicit-def: $vgpr1
.LBB15_48:
	s_andn2_saveexec_b32 s14, s14
	s_cbranch_execz .LBB15_50
; %bb.49:
	v_cmp_gt_f32_e64 vcc_lo, 0xf800000, |v2|
	v_mul_f32_e32 v8, -0.5, v8
	v_cndmask_b32_e64 v2, |v2|, v9, vcc_lo
	v_mul_f32_e32 v1, v1, v8
	v_sqrt_f32_e32 v6, v2
	v_add_nc_u32_e32 v9, -1, v6
	v_add_nc_u32_e32 v10, 1, v6
	v_fma_f32 v11, -v9, v6, v2
	v_fma_f32 v12, -v10, v6, v2
	v_cmp_ge_f32_e64 s4, 0, v11
	v_cndmask_b32_e64 v6, v6, v9, s4
	v_cmp_lt_f32_e64 s4, 0, v12
	v_cndmask_b32_e64 v6, v6, v10, s4
	v_mul_f32_e32 v9, 0x37800000, v6
	v_cndmask_b32_e32 v6, v6, v9, vcc_lo
	v_cmp_class_f32_e64 vcc_lo, v2, 0x260
	v_cndmask_b32_e32 v2, v6, v2, vcc_lo
	v_div_scale_f32 v6, null, v2, v2, v1
	v_rcp_f32_e32 v8, v6
	v_fma_f32 v9, -v6, v8, 1.0
	v_fmac_f32_e32 v8, v9, v8
	v_div_scale_f32 v9, vcc_lo, v1, v2, v1
	v_mul_f32_e32 v10, v9, v8
	v_fma_f32 v11, -v6, v10, v9
	v_fmac_f32_e32 v10, v11, v8
	v_fma_f32 v6, -v6, v10, v9
	v_div_fmas_f32 v6, v6, v8, v10
	v_div_fixup_f32 v6, v6, v2, v1
.LBB15_50:
	s_or_b32 exec_lo, exec_lo, s14
.LBB15_51:
	s_or_b32 exec_lo, exec_lo, s5
	s_add_u32 s4, s8, s12
	s_addc_u32 s5, s9, s13
	v_add_co_u32 v1, s12, s4, v7
	v_add_co_ci_u32_e64 v2, null, s5, 0, s12
	global_store_dwordx2 v7, v[3:4], s[4:5]
	v_add_co_u32 v1, vcc_lo, 0x800, v1
	v_add_co_ci_u32_e64 v2, null, 0, v2, vcc_lo
	global_store_dwordx2 v[1:2], v[5:6], off
	s_branch .LBB15_2
.LBB15_52:
	v_mov_b32_e32 v31, v0
	v_mov_b32_e32 v0, s8
	v_mov_b32_e32 v1, s9
	v_mov_b32_e32 v2, s10
	v_mov_b32_e32 v3, s11
	v_mov_b32_e32 v4, s7
	s_getpc_b64 s[4:5]
	s_add_u32 s4, s4, _ZN2at6native25elementwise_kernel_helperILb0EZZZNS0_12_GLOBAL__N_130modified_bessel_i1_kernel_cudaERNS_18TensorIteratorBaseEENKUlvE_clEvENKUlvE0_clEvEUlfE_NS0_6memory8policies11unroll_baseILi256ESt5arrayIPcLm2EE23TrivialOffsetCalculatorILi1EjESF_NS8_15LoadWithoutCastENS8_16StoreWithoutCastELi4ELi1EEEEEvT0_T1_@rel32@lo+4
	s_addc_u32 s5, s5, _ZN2at6native25elementwise_kernel_helperILb0EZZZNS0_12_GLOBAL__N_130modified_bessel_i1_kernel_cudaERNS_18TensorIteratorBaseEENKUlvE_clEvENKUlvE0_clEvEUlfE_NS0_6memory8policies11unroll_baseILi256ESt5arrayIPcLm2EE23TrivialOffsetCalculatorILi1EjESF_NS8_15LoadWithoutCastENS8_16StoreWithoutCastELi4ELi1EEEEEvT0_T1_@rel32@hi+12
	s_mov_b32 s12, s6
	s_swappc_b64 s[30:31], s[4:5]
	s_endpgm
	.section	.rodata,"a",@progbits
	.p2align	6, 0x0
	.amdhsa_kernel _ZN2at6native29vectorized_elementwise_kernelILi2EZZZNS0_12_GLOBAL__N_130modified_bessel_i1_kernel_cudaERNS_18TensorIteratorBaseEENKUlvE_clEvENKUlvE0_clEvEUlfE_St5arrayIPcLm2EEEEviT0_T1_
		.amdhsa_group_segment_fixed_size 0
		.amdhsa_private_segment_fixed_size 0
		.amdhsa_kernarg_size 24
		.amdhsa_user_sgpr_count 6
		.amdhsa_user_sgpr_private_segment_buffer 1
		.amdhsa_user_sgpr_dispatch_ptr 0
		.amdhsa_user_sgpr_queue_ptr 0
		.amdhsa_user_sgpr_kernarg_segment_ptr 1
		.amdhsa_user_sgpr_dispatch_id 0
		.amdhsa_user_sgpr_flat_scratch_init 0
		.amdhsa_user_sgpr_private_segment_size 0
		.amdhsa_wavefront_size32 1
		.amdhsa_uses_dynamic_stack 0
		.amdhsa_system_sgpr_private_segment_wavefront_offset 0
		.amdhsa_system_sgpr_workgroup_id_x 1
		.amdhsa_system_sgpr_workgroup_id_y 0
		.amdhsa_system_sgpr_workgroup_id_z 0
		.amdhsa_system_sgpr_workgroup_info 0
		.amdhsa_system_vgpr_workitem_id 0
		.amdhsa_next_free_vgpr 32
		.amdhsa_next_free_sgpr 33
		.amdhsa_reserve_vcc 1
		.amdhsa_reserve_flat_scratch 0
		.amdhsa_float_round_mode_32 0
		.amdhsa_float_round_mode_16_64 0
		.amdhsa_float_denorm_mode_32 3
		.amdhsa_float_denorm_mode_16_64 3
		.amdhsa_dx10_clamp 1
		.amdhsa_ieee_mode 1
		.amdhsa_fp16_overflow 0
		.amdhsa_workgroup_processor_mode 1
		.amdhsa_memory_ordered 1
		.amdhsa_forward_progress 1
		.amdhsa_shared_vgpr_count 0
		.amdhsa_exception_fp_ieee_invalid_op 0
		.amdhsa_exception_fp_denorm_src 0
		.amdhsa_exception_fp_ieee_div_zero 0
		.amdhsa_exception_fp_ieee_overflow 0
		.amdhsa_exception_fp_ieee_underflow 0
		.amdhsa_exception_fp_ieee_inexact 0
		.amdhsa_exception_int_div_zero 0
	.end_amdhsa_kernel
	.section	.text._ZN2at6native29vectorized_elementwise_kernelILi2EZZZNS0_12_GLOBAL__N_130modified_bessel_i1_kernel_cudaERNS_18TensorIteratorBaseEENKUlvE_clEvENKUlvE0_clEvEUlfE_St5arrayIPcLm2EEEEviT0_T1_,"axG",@progbits,_ZN2at6native29vectorized_elementwise_kernelILi2EZZZNS0_12_GLOBAL__N_130modified_bessel_i1_kernel_cudaERNS_18TensorIteratorBaseEENKUlvE_clEvENKUlvE0_clEvEUlfE_St5arrayIPcLm2EEEEviT0_T1_,comdat
.Lfunc_end15:
	.size	_ZN2at6native29vectorized_elementwise_kernelILi2EZZZNS0_12_GLOBAL__N_130modified_bessel_i1_kernel_cudaERNS_18TensorIteratorBaseEENKUlvE_clEvENKUlvE0_clEvEUlfE_St5arrayIPcLm2EEEEviT0_T1_, .Lfunc_end15-_ZN2at6native29vectorized_elementwise_kernelILi2EZZZNS0_12_GLOBAL__N_130modified_bessel_i1_kernel_cudaERNS_18TensorIteratorBaseEENKUlvE_clEvENKUlvE0_clEvEUlfE_St5arrayIPcLm2EEEEviT0_T1_
                                        ; -- End function
	.set _ZN2at6native29vectorized_elementwise_kernelILi2EZZZNS0_12_GLOBAL__N_130modified_bessel_i1_kernel_cudaERNS_18TensorIteratorBaseEENKUlvE_clEvENKUlvE0_clEvEUlfE_St5arrayIPcLm2EEEEviT0_T1_.num_vgpr, max(32, .L_ZN2at6native25elementwise_kernel_helperILb0EZZZNS0_12_GLOBAL__N_130modified_bessel_i1_kernel_cudaERNS_18TensorIteratorBaseEENKUlvE_clEvENKUlvE0_clEvEUlfE_NS0_6memory8policies11unroll_baseILi256ESt5arrayIPcLm2EE23TrivialOffsetCalculatorILi1EjESF_NS8_15LoadWithoutCastENS8_16StoreWithoutCastELi4ELi1EEEEEvT0_T1_.num_vgpr)
	.set _ZN2at6native29vectorized_elementwise_kernelILi2EZZZNS0_12_GLOBAL__N_130modified_bessel_i1_kernel_cudaERNS_18TensorIteratorBaseEENKUlvE_clEvENKUlvE0_clEvEUlfE_St5arrayIPcLm2EEEEviT0_T1_.num_agpr, max(0, .L_ZN2at6native25elementwise_kernel_helperILb0EZZZNS0_12_GLOBAL__N_130modified_bessel_i1_kernel_cudaERNS_18TensorIteratorBaseEENKUlvE_clEvENKUlvE0_clEvEUlfE_NS0_6memory8policies11unroll_baseILi256ESt5arrayIPcLm2EE23TrivialOffsetCalculatorILi1EjESF_NS8_15LoadWithoutCastENS8_16StoreWithoutCastELi4ELi1EEEEEvT0_T1_.num_agpr)
	.set _ZN2at6native29vectorized_elementwise_kernelILi2EZZZNS0_12_GLOBAL__N_130modified_bessel_i1_kernel_cudaERNS_18TensorIteratorBaseEENKUlvE_clEvENKUlvE0_clEvEUlfE_St5arrayIPcLm2EEEEviT0_T1_.numbered_sgpr, max(33, .L_ZN2at6native25elementwise_kernel_helperILb0EZZZNS0_12_GLOBAL__N_130modified_bessel_i1_kernel_cudaERNS_18TensorIteratorBaseEENKUlvE_clEvENKUlvE0_clEvEUlfE_NS0_6memory8policies11unroll_baseILi256ESt5arrayIPcLm2EE23TrivialOffsetCalculatorILi1EjESF_NS8_15LoadWithoutCastENS8_16StoreWithoutCastELi4ELi1EEEEEvT0_T1_.numbered_sgpr)
	.set _ZN2at6native29vectorized_elementwise_kernelILi2EZZZNS0_12_GLOBAL__N_130modified_bessel_i1_kernel_cudaERNS_18TensorIteratorBaseEENKUlvE_clEvENKUlvE0_clEvEUlfE_St5arrayIPcLm2EEEEviT0_T1_.num_named_barrier, max(0, .L_ZN2at6native25elementwise_kernel_helperILb0EZZZNS0_12_GLOBAL__N_130modified_bessel_i1_kernel_cudaERNS_18TensorIteratorBaseEENKUlvE_clEvENKUlvE0_clEvEUlfE_NS0_6memory8policies11unroll_baseILi256ESt5arrayIPcLm2EE23TrivialOffsetCalculatorILi1EjESF_NS8_15LoadWithoutCastENS8_16StoreWithoutCastELi4ELi1EEEEEvT0_T1_.num_named_barrier)
	.set _ZN2at6native29vectorized_elementwise_kernelILi2EZZZNS0_12_GLOBAL__N_130modified_bessel_i1_kernel_cudaERNS_18TensorIteratorBaseEENKUlvE_clEvENKUlvE0_clEvEUlfE_St5arrayIPcLm2EEEEviT0_T1_.private_seg_size, 0+max(.L_ZN2at6native25elementwise_kernel_helperILb0EZZZNS0_12_GLOBAL__N_130modified_bessel_i1_kernel_cudaERNS_18TensorIteratorBaseEENKUlvE_clEvENKUlvE0_clEvEUlfE_NS0_6memory8policies11unroll_baseILi256ESt5arrayIPcLm2EE23TrivialOffsetCalculatorILi1EjESF_NS8_15LoadWithoutCastENS8_16StoreWithoutCastELi4ELi1EEEEEvT0_T1_.private_seg_size)
	.set _ZN2at6native29vectorized_elementwise_kernelILi2EZZZNS0_12_GLOBAL__N_130modified_bessel_i1_kernel_cudaERNS_18TensorIteratorBaseEENKUlvE_clEvENKUlvE0_clEvEUlfE_St5arrayIPcLm2EEEEviT0_T1_.uses_vcc, or(1, .L_ZN2at6native25elementwise_kernel_helperILb0EZZZNS0_12_GLOBAL__N_130modified_bessel_i1_kernel_cudaERNS_18TensorIteratorBaseEENKUlvE_clEvENKUlvE0_clEvEUlfE_NS0_6memory8policies11unroll_baseILi256ESt5arrayIPcLm2EE23TrivialOffsetCalculatorILi1EjESF_NS8_15LoadWithoutCastENS8_16StoreWithoutCastELi4ELi1EEEEEvT0_T1_.uses_vcc)
	.set _ZN2at6native29vectorized_elementwise_kernelILi2EZZZNS0_12_GLOBAL__N_130modified_bessel_i1_kernel_cudaERNS_18TensorIteratorBaseEENKUlvE_clEvENKUlvE0_clEvEUlfE_St5arrayIPcLm2EEEEviT0_T1_.uses_flat_scratch, or(0, .L_ZN2at6native25elementwise_kernel_helperILb0EZZZNS0_12_GLOBAL__N_130modified_bessel_i1_kernel_cudaERNS_18TensorIteratorBaseEENKUlvE_clEvENKUlvE0_clEvEUlfE_NS0_6memory8policies11unroll_baseILi256ESt5arrayIPcLm2EE23TrivialOffsetCalculatorILi1EjESF_NS8_15LoadWithoutCastENS8_16StoreWithoutCastELi4ELi1EEEEEvT0_T1_.uses_flat_scratch)
	.set _ZN2at6native29vectorized_elementwise_kernelILi2EZZZNS0_12_GLOBAL__N_130modified_bessel_i1_kernel_cudaERNS_18TensorIteratorBaseEENKUlvE_clEvENKUlvE0_clEvEUlfE_St5arrayIPcLm2EEEEviT0_T1_.has_dyn_sized_stack, or(0, .L_ZN2at6native25elementwise_kernel_helperILb0EZZZNS0_12_GLOBAL__N_130modified_bessel_i1_kernel_cudaERNS_18TensorIteratorBaseEENKUlvE_clEvENKUlvE0_clEvEUlfE_NS0_6memory8policies11unroll_baseILi256ESt5arrayIPcLm2EE23TrivialOffsetCalculatorILi1EjESF_NS8_15LoadWithoutCastENS8_16StoreWithoutCastELi4ELi1EEEEEvT0_T1_.has_dyn_sized_stack)
	.set _ZN2at6native29vectorized_elementwise_kernelILi2EZZZNS0_12_GLOBAL__N_130modified_bessel_i1_kernel_cudaERNS_18TensorIteratorBaseEENKUlvE_clEvENKUlvE0_clEvEUlfE_St5arrayIPcLm2EEEEviT0_T1_.has_recursion, or(0, .L_ZN2at6native25elementwise_kernel_helperILb0EZZZNS0_12_GLOBAL__N_130modified_bessel_i1_kernel_cudaERNS_18TensorIteratorBaseEENKUlvE_clEvENKUlvE0_clEvEUlfE_NS0_6memory8policies11unroll_baseILi256ESt5arrayIPcLm2EE23TrivialOffsetCalculatorILi1EjESF_NS8_15LoadWithoutCastENS8_16StoreWithoutCastELi4ELi1EEEEEvT0_T1_.has_recursion)
	.set _ZN2at6native29vectorized_elementwise_kernelILi2EZZZNS0_12_GLOBAL__N_130modified_bessel_i1_kernel_cudaERNS_18TensorIteratorBaseEENKUlvE_clEvENKUlvE0_clEvEUlfE_St5arrayIPcLm2EEEEviT0_T1_.has_indirect_call, or(0, .L_ZN2at6native25elementwise_kernel_helperILb0EZZZNS0_12_GLOBAL__N_130modified_bessel_i1_kernel_cudaERNS_18TensorIteratorBaseEENKUlvE_clEvENKUlvE0_clEvEUlfE_NS0_6memory8policies11unroll_baseILi256ESt5arrayIPcLm2EE23TrivialOffsetCalculatorILi1EjESF_NS8_15LoadWithoutCastENS8_16StoreWithoutCastELi4ELi1EEEEEvT0_T1_.has_indirect_call)
	.section	.AMDGPU.csdata,"",@progbits
; Kernel info:
; codeLenInByte = 6812
; TotalNumSgprs: 35
; NumVgprs: 32
; ScratchSize: 0
; MemoryBound: 0
; FloatMode: 240
; IeeeMode: 1
; LDSByteSize: 0 bytes/workgroup (compile time only)
; SGPRBlocks: 0
; VGPRBlocks: 3
; NumSGPRsForWavesPerEU: 35
; NumVGPRsForWavesPerEU: 32
; Occupancy: 16
; WaveLimiterHint : 1
; COMPUTE_PGM_RSRC2:SCRATCH_EN: 0
; COMPUTE_PGM_RSRC2:USER_SGPR: 6
; COMPUTE_PGM_RSRC2:TRAP_HANDLER: 0
; COMPUTE_PGM_RSRC2:TGID_X_EN: 1
; COMPUTE_PGM_RSRC2:TGID_Y_EN: 0
; COMPUTE_PGM_RSRC2:TGID_Z_EN: 0
; COMPUTE_PGM_RSRC2:TIDIG_COMP_CNT: 0
	.section	.text._ZN2at6native27unrolled_elementwise_kernelIZZZNS0_12_GLOBAL__N_130modified_bessel_i1_kernel_cudaERNS_18TensorIteratorBaseEENKUlvE_clEvENKUlvE0_clEvEUlfE_St5arrayIPcLm2EELi4E23TrivialOffsetCalculatorILi1EjESC_NS0_6memory15LoadWithoutCastENSD_16StoreWithoutCastEEEviT_T0_T2_T3_T4_T5_,"axG",@progbits,_ZN2at6native27unrolled_elementwise_kernelIZZZNS0_12_GLOBAL__N_130modified_bessel_i1_kernel_cudaERNS_18TensorIteratorBaseEENKUlvE_clEvENKUlvE0_clEvEUlfE_St5arrayIPcLm2EELi4E23TrivialOffsetCalculatorILi1EjESC_NS0_6memory15LoadWithoutCastENSD_16StoreWithoutCastEEEviT_T0_T2_T3_T4_T5_,comdat
	.globl	_ZN2at6native27unrolled_elementwise_kernelIZZZNS0_12_GLOBAL__N_130modified_bessel_i1_kernel_cudaERNS_18TensorIteratorBaseEENKUlvE_clEvENKUlvE0_clEvEUlfE_St5arrayIPcLm2EELi4E23TrivialOffsetCalculatorILi1EjESC_NS0_6memory15LoadWithoutCastENSD_16StoreWithoutCastEEEviT_T0_T2_T3_T4_T5_ ; -- Begin function _ZN2at6native27unrolled_elementwise_kernelIZZZNS0_12_GLOBAL__N_130modified_bessel_i1_kernel_cudaERNS_18TensorIteratorBaseEENKUlvE_clEvENKUlvE0_clEvEUlfE_St5arrayIPcLm2EELi4E23TrivialOffsetCalculatorILi1EjESC_NS0_6memory15LoadWithoutCastENSD_16StoreWithoutCastEEEviT_T0_T2_T3_T4_T5_
	.p2align	8
	.type	_ZN2at6native27unrolled_elementwise_kernelIZZZNS0_12_GLOBAL__N_130modified_bessel_i1_kernel_cudaERNS_18TensorIteratorBaseEENKUlvE_clEvENKUlvE0_clEvEUlfE_St5arrayIPcLm2EELi4E23TrivialOffsetCalculatorILi1EjESC_NS0_6memory15LoadWithoutCastENSD_16StoreWithoutCastEEEviT_T0_T2_T3_T4_T5_,@function
_ZN2at6native27unrolled_elementwise_kernelIZZZNS0_12_GLOBAL__N_130modified_bessel_i1_kernel_cudaERNS_18TensorIteratorBaseEENKUlvE_clEvENKUlvE0_clEvEUlfE_St5arrayIPcLm2EELi4E23TrivialOffsetCalculatorILi1EjESC_NS0_6memory15LoadWithoutCastENSD_16StoreWithoutCastEEEviT_T0_T2_T3_T4_T5_: ; @_ZN2at6native27unrolled_elementwise_kernelIZZZNS0_12_GLOBAL__N_130modified_bessel_i1_kernel_cudaERNS_18TensorIteratorBaseEENKUlvE_clEvENKUlvE0_clEvEUlfE_St5arrayIPcLm2EELi4E23TrivialOffsetCalculatorILi1EjESC_NS0_6memory15LoadWithoutCastENSD_16StoreWithoutCastEEEviT_T0_T2_T3_T4_T5_
; %bb.0:
	s_add_u32 s0, s0, s7
	s_clause 0x1
	s_load_dword s7, s[4:5], 0x0
	s_load_dwordx4 s[8:11], s[4:5], 0x8
	s_addc_u32 s1, s1, 0
	s_lshl_b32 s12, s6, 10
	s_getpc_b64 s[4:5]
	s_add_u32 s4, s4, _ZN2at6native25elementwise_kernel_helperILb0EZZZNS0_12_GLOBAL__N_130modified_bessel_i1_kernel_cudaERNS_18TensorIteratorBaseEENKUlvE_clEvENKUlvE0_clEvEUlfE_NS0_6memory8policies11unroll_baseILi256ESt5arrayIPcLm2EE23TrivialOffsetCalculatorILi1EjESF_NS8_15LoadWithoutCastENS8_16StoreWithoutCastELi4ELi1EEEEEvT0_T1_@rel32@lo+4
	s_addc_u32 s5, s5, _ZN2at6native25elementwise_kernel_helperILb0EZZZNS0_12_GLOBAL__N_130modified_bessel_i1_kernel_cudaERNS_18TensorIteratorBaseEENKUlvE_clEvENKUlvE0_clEvEUlfE_NS0_6memory8policies11unroll_baseILi256ESt5arrayIPcLm2EE23TrivialOffsetCalculatorILi1EjESF_NS8_15LoadWithoutCastENS8_16StoreWithoutCastELi4ELi1EEEEEvT0_T1_@rel32@hi+12
	v_mov_b32_e32 v31, v0
	s_mov_b32 s32, 0
	s_waitcnt lgkmcnt(0)
	s_sub_i32 s7, s7, s12
	v_mov_b32_e32 v0, s8
	v_mov_b32_e32 v1, s9
	;; [unrolled: 1-line block ×5, first 2 shown]
	s_mov_b32 s12, s6
	s_swappc_b64 s[30:31], s[4:5]
	s_endpgm
	.section	.rodata,"a",@progbits
	.p2align	6, 0x0
	.amdhsa_kernel _ZN2at6native27unrolled_elementwise_kernelIZZZNS0_12_GLOBAL__N_130modified_bessel_i1_kernel_cudaERNS_18TensorIteratorBaseEENKUlvE_clEvENKUlvE0_clEvEUlfE_St5arrayIPcLm2EELi4E23TrivialOffsetCalculatorILi1EjESC_NS0_6memory15LoadWithoutCastENSD_16StoreWithoutCastEEEviT_T0_T2_T3_T4_T5_
		.amdhsa_group_segment_fixed_size 0
		.amdhsa_private_segment_fixed_size 0
		.amdhsa_kernarg_size 28
		.amdhsa_user_sgpr_count 6
		.amdhsa_user_sgpr_private_segment_buffer 1
		.amdhsa_user_sgpr_dispatch_ptr 0
		.amdhsa_user_sgpr_queue_ptr 0
		.amdhsa_user_sgpr_kernarg_segment_ptr 1
		.amdhsa_user_sgpr_dispatch_id 0
		.amdhsa_user_sgpr_flat_scratch_init 0
		.amdhsa_user_sgpr_private_segment_size 0
		.amdhsa_wavefront_size32 1
		.amdhsa_uses_dynamic_stack 0
		.amdhsa_system_sgpr_private_segment_wavefront_offset 0
		.amdhsa_system_sgpr_workgroup_id_x 1
		.amdhsa_system_sgpr_workgroup_id_y 0
		.amdhsa_system_sgpr_workgroup_id_z 0
		.amdhsa_system_sgpr_workgroup_info 0
		.amdhsa_system_vgpr_workitem_id 0
		.amdhsa_next_free_vgpr 32
		.amdhsa_next_free_sgpr 33
		.amdhsa_reserve_vcc 1
		.amdhsa_reserve_flat_scratch 0
		.amdhsa_float_round_mode_32 0
		.amdhsa_float_round_mode_16_64 0
		.amdhsa_float_denorm_mode_32 3
		.amdhsa_float_denorm_mode_16_64 3
		.amdhsa_dx10_clamp 1
		.amdhsa_ieee_mode 1
		.amdhsa_fp16_overflow 0
		.amdhsa_workgroup_processor_mode 1
		.amdhsa_memory_ordered 1
		.amdhsa_forward_progress 1
		.amdhsa_shared_vgpr_count 0
		.amdhsa_exception_fp_ieee_invalid_op 0
		.amdhsa_exception_fp_denorm_src 0
		.amdhsa_exception_fp_ieee_div_zero 0
		.amdhsa_exception_fp_ieee_overflow 0
		.amdhsa_exception_fp_ieee_underflow 0
		.amdhsa_exception_fp_ieee_inexact 0
		.amdhsa_exception_int_div_zero 0
	.end_amdhsa_kernel
	.section	.text._ZN2at6native27unrolled_elementwise_kernelIZZZNS0_12_GLOBAL__N_130modified_bessel_i1_kernel_cudaERNS_18TensorIteratorBaseEENKUlvE_clEvENKUlvE0_clEvEUlfE_St5arrayIPcLm2EELi4E23TrivialOffsetCalculatorILi1EjESC_NS0_6memory15LoadWithoutCastENSD_16StoreWithoutCastEEEviT_T0_T2_T3_T4_T5_,"axG",@progbits,_ZN2at6native27unrolled_elementwise_kernelIZZZNS0_12_GLOBAL__N_130modified_bessel_i1_kernel_cudaERNS_18TensorIteratorBaseEENKUlvE_clEvENKUlvE0_clEvEUlfE_St5arrayIPcLm2EELi4E23TrivialOffsetCalculatorILi1EjESC_NS0_6memory15LoadWithoutCastENSD_16StoreWithoutCastEEEviT_T0_T2_T3_T4_T5_,comdat
.Lfunc_end16:
	.size	_ZN2at6native27unrolled_elementwise_kernelIZZZNS0_12_GLOBAL__N_130modified_bessel_i1_kernel_cudaERNS_18TensorIteratorBaseEENKUlvE_clEvENKUlvE0_clEvEUlfE_St5arrayIPcLm2EELi4E23TrivialOffsetCalculatorILi1EjESC_NS0_6memory15LoadWithoutCastENSD_16StoreWithoutCastEEEviT_T0_T2_T3_T4_T5_, .Lfunc_end16-_ZN2at6native27unrolled_elementwise_kernelIZZZNS0_12_GLOBAL__N_130modified_bessel_i1_kernel_cudaERNS_18TensorIteratorBaseEENKUlvE_clEvENKUlvE0_clEvEUlfE_St5arrayIPcLm2EELi4E23TrivialOffsetCalculatorILi1EjESC_NS0_6memory15LoadWithoutCastENSD_16StoreWithoutCastEEEviT_T0_T2_T3_T4_T5_
                                        ; -- End function
	.set _ZN2at6native27unrolled_elementwise_kernelIZZZNS0_12_GLOBAL__N_130modified_bessel_i1_kernel_cudaERNS_18TensorIteratorBaseEENKUlvE_clEvENKUlvE0_clEvEUlfE_St5arrayIPcLm2EELi4E23TrivialOffsetCalculatorILi1EjESC_NS0_6memory15LoadWithoutCastENSD_16StoreWithoutCastEEEviT_T0_T2_T3_T4_T5_.num_vgpr, max(32, .L_ZN2at6native25elementwise_kernel_helperILb0EZZZNS0_12_GLOBAL__N_130modified_bessel_i1_kernel_cudaERNS_18TensorIteratorBaseEENKUlvE_clEvENKUlvE0_clEvEUlfE_NS0_6memory8policies11unroll_baseILi256ESt5arrayIPcLm2EE23TrivialOffsetCalculatorILi1EjESF_NS8_15LoadWithoutCastENS8_16StoreWithoutCastELi4ELi1EEEEEvT0_T1_.num_vgpr)
	.set _ZN2at6native27unrolled_elementwise_kernelIZZZNS0_12_GLOBAL__N_130modified_bessel_i1_kernel_cudaERNS_18TensorIteratorBaseEENKUlvE_clEvENKUlvE0_clEvEUlfE_St5arrayIPcLm2EELi4E23TrivialOffsetCalculatorILi1EjESC_NS0_6memory15LoadWithoutCastENSD_16StoreWithoutCastEEEviT_T0_T2_T3_T4_T5_.num_agpr, max(0, .L_ZN2at6native25elementwise_kernel_helperILb0EZZZNS0_12_GLOBAL__N_130modified_bessel_i1_kernel_cudaERNS_18TensorIteratorBaseEENKUlvE_clEvENKUlvE0_clEvEUlfE_NS0_6memory8policies11unroll_baseILi256ESt5arrayIPcLm2EE23TrivialOffsetCalculatorILi1EjESF_NS8_15LoadWithoutCastENS8_16StoreWithoutCastELi4ELi1EEEEEvT0_T1_.num_agpr)
	.set _ZN2at6native27unrolled_elementwise_kernelIZZZNS0_12_GLOBAL__N_130modified_bessel_i1_kernel_cudaERNS_18TensorIteratorBaseEENKUlvE_clEvENKUlvE0_clEvEUlfE_St5arrayIPcLm2EELi4E23TrivialOffsetCalculatorILi1EjESC_NS0_6memory15LoadWithoutCastENSD_16StoreWithoutCastEEEviT_T0_T2_T3_T4_T5_.numbered_sgpr, max(33, .L_ZN2at6native25elementwise_kernel_helperILb0EZZZNS0_12_GLOBAL__N_130modified_bessel_i1_kernel_cudaERNS_18TensorIteratorBaseEENKUlvE_clEvENKUlvE0_clEvEUlfE_NS0_6memory8policies11unroll_baseILi256ESt5arrayIPcLm2EE23TrivialOffsetCalculatorILi1EjESF_NS8_15LoadWithoutCastENS8_16StoreWithoutCastELi4ELi1EEEEEvT0_T1_.numbered_sgpr)
	.set _ZN2at6native27unrolled_elementwise_kernelIZZZNS0_12_GLOBAL__N_130modified_bessel_i1_kernel_cudaERNS_18TensorIteratorBaseEENKUlvE_clEvENKUlvE0_clEvEUlfE_St5arrayIPcLm2EELi4E23TrivialOffsetCalculatorILi1EjESC_NS0_6memory15LoadWithoutCastENSD_16StoreWithoutCastEEEviT_T0_T2_T3_T4_T5_.num_named_barrier, max(0, .L_ZN2at6native25elementwise_kernel_helperILb0EZZZNS0_12_GLOBAL__N_130modified_bessel_i1_kernel_cudaERNS_18TensorIteratorBaseEENKUlvE_clEvENKUlvE0_clEvEUlfE_NS0_6memory8policies11unroll_baseILi256ESt5arrayIPcLm2EE23TrivialOffsetCalculatorILi1EjESF_NS8_15LoadWithoutCastENS8_16StoreWithoutCastELi4ELi1EEEEEvT0_T1_.num_named_barrier)
	.set _ZN2at6native27unrolled_elementwise_kernelIZZZNS0_12_GLOBAL__N_130modified_bessel_i1_kernel_cudaERNS_18TensorIteratorBaseEENKUlvE_clEvENKUlvE0_clEvEUlfE_St5arrayIPcLm2EELi4E23TrivialOffsetCalculatorILi1EjESC_NS0_6memory15LoadWithoutCastENSD_16StoreWithoutCastEEEviT_T0_T2_T3_T4_T5_.private_seg_size, 0+max(.L_ZN2at6native25elementwise_kernel_helperILb0EZZZNS0_12_GLOBAL__N_130modified_bessel_i1_kernel_cudaERNS_18TensorIteratorBaseEENKUlvE_clEvENKUlvE0_clEvEUlfE_NS0_6memory8policies11unroll_baseILi256ESt5arrayIPcLm2EE23TrivialOffsetCalculatorILi1EjESF_NS8_15LoadWithoutCastENS8_16StoreWithoutCastELi4ELi1EEEEEvT0_T1_.private_seg_size)
	.set _ZN2at6native27unrolled_elementwise_kernelIZZZNS0_12_GLOBAL__N_130modified_bessel_i1_kernel_cudaERNS_18TensorIteratorBaseEENKUlvE_clEvENKUlvE0_clEvEUlfE_St5arrayIPcLm2EELi4E23TrivialOffsetCalculatorILi1EjESC_NS0_6memory15LoadWithoutCastENSD_16StoreWithoutCastEEEviT_T0_T2_T3_T4_T5_.uses_vcc, or(1, .L_ZN2at6native25elementwise_kernel_helperILb0EZZZNS0_12_GLOBAL__N_130modified_bessel_i1_kernel_cudaERNS_18TensorIteratorBaseEENKUlvE_clEvENKUlvE0_clEvEUlfE_NS0_6memory8policies11unroll_baseILi256ESt5arrayIPcLm2EE23TrivialOffsetCalculatorILi1EjESF_NS8_15LoadWithoutCastENS8_16StoreWithoutCastELi4ELi1EEEEEvT0_T1_.uses_vcc)
	.set _ZN2at6native27unrolled_elementwise_kernelIZZZNS0_12_GLOBAL__N_130modified_bessel_i1_kernel_cudaERNS_18TensorIteratorBaseEENKUlvE_clEvENKUlvE0_clEvEUlfE_St5arrayIPcLm2EELi4E23TrivialOffsetCalculatorILi1EjESC_NS0_6memory15LoadWithoutCastENSD_16StoreWithoutCastEEEviT_T0_T2_T3_T4_T5_.uses_flat_scratch, or(0, .L_ZN2at6native25elementwise_kernel_helperILb0EZZZNS0_12_GLOBAL__N_130modified_bessel_i1_kernel_cudaERNS_18TensorIteratorBaseEENKUlvE_clEvENKUlvE0_clEvEUlfE_NS0_6memory8policies11unroll_baseILi256ESt5arrayIPcLm2EE23TrivialOffsetCalculatorILi1EjESF_NS8_15LoadWithoutCastENS8_16StoreWithoutCastELi4ELi1EEEEEvT0_T1_.uses_flat_scratch)
	.set _ZN2at6native27unrolled_elementwise_kernelIZZZNS0_12_GLOBAL__N_130modified_bessel_i1_kernel_cudaERNS_18TensorIteratorBaseEENKUlvE_clEvENKUlvE0_clEvEUlfE_St5arrayIPcLm2EELi4E23TrivialOffsetCalculatorILi1EjESC_NS0_6memory15LoadWithoutCastENSD_16StoreWithoutCastEEEviT_T0_T2_T3_T4_T5_.has_dyn_sized_stack, or(0, .L_ZN2at6native25elementwise_kernel_helperILb0EZZZNS0_12_GLOBAL__N_130modified_bessel_i1_kernel_cudaERNS_18TensorIteratorBaseEENKUlvE_clEvENKUlvE0_clEvEUlfE_NS0_6memory8policies11unroll_baseILi256ESt5arrayIPcLm2EE23TrivialOffsetCalculatorILi1EjESF_NS8_15LoadWithoutCastENS8_16StoreWithoutCastELi4ELi1EEEEEvT0_T1_.has_dyn_sized_stack)
	.set _ZN2at6native27unrolled_elementwise_kernelIZZZNS0_12_GLOBAL__N_130modified_bessel_i1_kernel_cudaERNS_18TensorIteratorBaseEENKUlvE_clEvENKUlvE0_clEvEUlfE_St5arrayIPcLm2EELi4E23TrivialOffsetCalculatorILi1EjESC_NS0_6memory15LoadWithoutCastENSD_16StoreWithoutCastEEEviT_T0_T2_T3_T4_T5_.has_recursion, or(0, .L_ZN2at6native25elementwise_kernel_helperILb0EZZZNS0_12_GLOBAL__N_130modified_bessel_i1_kernel_cudaERNS_18TensorIteratorBaseEENKUlvE_clEvENKUlvE0_clEvEUlfE_NS0_6memory8policies11unroll_baseILi256ESt5arrayIPcLm2EE23TrivialOffsetCalculatorILi1EjESF_NS8_15LoadWithoutCastENS8_16StoreWithoutCastELi4ELi1EEEEEvT0_T1_.has_recursion)
	.set _ZN2at6native27unrolled_elementwise_kernelIZZZNS0_12_GLOBAL__N_130modified_bessel_i1_kernel_cudaERNS_18TensorIteratorBaseEENKUlvE_clEvENKUlvE0_clEvEUlfE_St5arrayIPcLm2EELi4E23TrivialOffsetCalculatorILi1EjESC_NS0_6memory15LoadWithoutCastENSD_16StoreWithoutCastEEEviT_T0_T2_T3_T4_T5_.has_indirect_call, or(0, .L_ZN2at6native25elementwise_kernel_helperILb0EZZZNS0_12_GLOBAL__N_130modified_bessel_i1_kernel_cudaERNS_18TensorIteratorBaseEENKUlvE_clEvENKUlvE0_clEvEUlfE_NS0_6memory8policies11unroll_baseILi256ESt5arrayIPcLm2EE23TrivialOffsetCalculatorILi1EjESF_NS8_15LoadWithoutCastENS8_16StoreWithoutCastELi4ELi1EEEEEvT0_T1_.has_indirect_call)
	.section	.AMDGPU.csdata,"",@progbits
; Kernel info:
; codeLenInByte = 100
; TotalNumSgprs: 35
; NumVgprs: 32
; ScratchSize: 0
; MemoryBound: 0
; FloatMode: 240
; IeeeMode: 1
; LDSByteSize: 0 bytes/workgroup (compile time only)
; SGPRBlocks: 0
; VGPRBlocks: 3
; NumSGPRsForWavesPerEU: 35
; NumVGPRsForWavesPerEU: 32
; Occupancy: 16
; WaveLimiterHint : 0
; COMPUTE_PGM_RSRC2:SCRATCH_EN: 0
; COMPUTE_PGM_RSRC2:USER_SGPR: 6
; COMPUTE_PGM_RSRC2:TRAP_HANDLER: 0
; COMPUTE_PGM_RSRC2:TGID_X_EN: 1
; COMPUTE_PGM_RSRC2:TGID_Y_EN: 0
; COMPUTE_PGM_RSRC2:TGID_Z_EN: 0
; COMPUTE_PGM_RSRC2:TIDIG_COMP_CNT: 0
	.section	.text._ZN2at6native32elementwise_kernel_manual_unrollILi128ELi4EZNS0_22gpu_kernel_impl_nocastIZZZNS0_12_GLOBAL__N_130modified_bessel_i1_kernel_cudaERNS_18TensorIteratorBaseEENKUlvE_clEvENKUlvE0_clEvEUlfE_EEvS5_RKT_EUlibE_EEviT1_,"axG",@progbits,_ZN2at6native32elementwise_kernel_manual_unrollILi128ELi4EZNS0_22gpu_kernel_impl_nocastIZZZNS0_12_GLOBAL__N_130modified_bessel_i1_kernel_cudaERNS_18TensorIteratorBaseEENKUlvE_clEvENKUlvE0_clEvEUlfE_EEvS5_RKT_EUlibE_EEviT1_,comdat
	.globl	_ZN2at6native32elementwise_kernel_manual_unrollILi128ELi4EZNS0_22gpu_kernel_impl_nocastIZZZNS0_12_GLOBAL__N_130modified_bessel_i1_kernel_cudaERNS_18TensorIteratorBaseEENKUlvE_clEvENKUlvE0_clEvEUlfE_EEvS5_RKT_EUlibE_EEviT1_ ; -- Begin function _ZN2at6native32elementwise_kernel_manual_unrollILi128ELi4EZNS0_22gpu_kernel_impl_nocastIZZZNS0_12_GLOBAL__N_130modified_bessel_i1_kernel_cudaERNS_18TensorIteratorBaseEENKUlvE_clEvENKUlvE0_clEvEUlfE_EEvS5_RKT_EUlibE_EEviT1_
	.p2align	8
	.type	_ZN2at6native32elementwise_kernel_manual_unrollILi128ELi4EZNS0_22gpu_kernel_impl_nocastIZZZNS0_12_GLOBAL__N_130modified_bessel_i1_kernel_cudaERNS_18TensorIteratorBaseEENKUlvE_clEvENKUlvE0_clEvEUlfE_EEvS5_RKT_EUlibE_EEviT1_,@function
_ZN2at6native32elementwise_kernel_manual_unrollILi128ELi4EZNS0_22gpu_kernel_impl_nocastIZZZNS0_12_GLOBAL__N_130modified_bessel_i1_kernel_cudaERNS_18TensorIteratorBaseEENKUlvE_clEvENKUlvE0_clEvEUlfE_EEvS5_RKT_EUlibE_EEviT1_: ; @_ZN2at6native32elementwise_kernel_manual_unrollILi128ELi4EZNS0_22gpu_kernel_impl_nocastIZZZNS0_12_GLOBAL__N_130modified_bessel_i1_kernel_cudaERNS_18TensorIteratorBaseEENKUlvE_clEvENKUlvE0_clEvEUlfE_EEvS5_RKT_EUlibE_EEviT1_
; %bb.0:
	s_clause 0x1
	s_load_dword s22, s[4:5], 0x8
	s_load_dword s27, s[4:5], 0x0
	v_lshl_or_b32 v4, s6, 9, v0
	s_add_u32 s2, s4, 8
	s_addc_u32 s3, s5, 0
	s_mov_b32 s0, exec_lo
	v_or_b32_e32 v13, 0x180, v4
	s_waitcnt lgkmcnt(0)
	s_add_i32 s23, s22, -1
	s_cmp_gt_u32 s23, 1
	s_cselect_b32 s24, -1, 0
	v_cmpx_le_i32_e64 s27, v13
	s_xor_b32 s25, exec_lo, s0
	s_cbranch_execz .LBB17_7
; %bb.1:
	s_clause 0x3
	s_load_dwordx4 s[12:15], s[2:3], 0x4
	s_load_dwordx2 s[16:17], s[2:3], 0x14
	s_load_dwordx4 s[8:11], s[2:3], 0xc4
	s_load_dwordx4 s[4:7], s[2:3], 0x148
	s_cmp_lg_u32 s22, 0
	s_mov_b32 s30, exec_lo
	s_cselect_b32 s29, -1, 0
	s_add_u32 s18, s2, 0xc4
	s_addc_u32 s19, s3, 0
	s_min_u32 s28, s23, 15
	s_cmp_gt_u32 s22, 1
	s_cselect_b32 s26, -1, 0
	v_cmpx_gt_i32_e64 s27, v4
	s_cbranch_execz .LBB17_14
; %bb.2:
	s_andn2_b32 vcc_lo, exec_lo, s24
	s_cbranch_vccnz .LBB17_21
; %bb.3:
	s_andn2_b32 vcc_lo, exec_lo, s29
	s_cbranch_vccnz .LBB17_121
; %bb.4:
	s_add_i32 s33, s28, 1
	s_cmp_eq_u32 s23, 2
	s_cbranch_scc1 .LBB17_123
; %bb.5:
	v_mov_b32_e32 v2, 0
	v_mov_b32_e32 v0, 0
	;; [unrolled: 1-line block ×3, first 2 shown]
	s_and_b32 s31, s33, 28
	s_mov_b32 s34, 0
	s_mov_b64 s[0:1], s[2:3]
	s_mov_b64 s[20:21], s[18:19]
.LBB17_6:                               ; =>This Inner Loop Header: Depth=1
	s_clause 0x1
	s_load_dwordx8 s[36:43], s[0:1], 0x4
	s_load_dwordx4 s[52:55], s[0:1], 0x24
	s_load_dwordx8 s[44:51], s[20:21], 0x0
	s_add_u32 s0, s0, 48
	s_addc_u32 s1, s1, 0
	s_add_i32 s34, s34, 4
	s_add_u32 s20, s20, 32
	s_addc_u32 s21, s21, 0
	s_cmp_lg_u32 s31, s34
	s_waitcnt lgkmcnt(0)
	v_mul_hi_u32 v3, s37, v1
	v_add_nc_u32_e32 v3, v1, v3
	v_lshrrev_b32_e32 v3, s38, v3
	v_mul_hi_u32 v5, s40, v3
	v_mul_lo_u32 v7, v3, s36
	v_add_nc_u32_e32 v5, v3, v5
	v_sub_nc_u32_e32 v1, v1, v7
	v_lshrrev_b32_e32 v5, s41, v5
	v_mul_lo_u32 v7, v1, s44
	v_mul_lo_u32 v9, v1, s45
	v_mul_hi_u32 v6, s43, v5
	v_add_nc_u32_e32 v6, v5, v6
	v_lshrrev_b32_e32 v6, s52, v6
	v_mul_hi_u32 v8, s54, v6
	v_mul_lo_u32 v10, v6, s42
	v_add_nc_u32_e32 v1, v6, v8
	v_mul_lo_u32 v8, v5, s39
	v_sub_nc_u32_e32 v5, v5, v10
	v_lshrrev_b32_e32 v1, s55, v1
	v_mul_lo_u32 v10, v5, s48
	v_mul_lo_u32 v5, v5, s49
	v_sub_nc_u32_e32 v3, v3, v8
	v_mul_lo_u32 v11, v1, s53
	v_mul_lo_u32 v8, v3, s46
	v_mul_lo_u32 v3, v3, s47
	v_sub_nc_u32_e32 v6, v6, v11
	v_add3_u32 v0, v7, v0, v8
	v_mul_lo_u32 v11, v6, s50
	v_mul_lo_u32 v6, v6, s51
	v_add3_u32 v2, v9, v2, v3
	v_add3_u32 v0, v10, v0, v11
	;; [unrolled: 1-line block ×3, first 2 shown]
	s_cbranch_scc1 .LBB17_6
	s_branch .LBB17_124
.LBB17_7:
	s_andn2_saveexec_b32 s0, s25
	s_cbranch_execz .LBB17_173
.LBB17_8:
	v_cndmask_b32_e64 v5, 0, 1, s24
	s_andn2_b32 vcc_lo, exec_lo, s24
	s_cbranch_vccnz .LBB17_20
; %bb.9:
	s_cmp_lg_u32 s22, 0
	s_waitcnt lgkmcnt(0)
	s_mov_b32 s6, 0
	s_cbranch_scc0 .LBB17_23
; %bb.10:
	s_min_u32 s8, s23, 15
	s_add_i32 s8, s8, 1
	s_cmp_eq_u32 s23, 2
	s_cbranch_scc1 .LBB17_24
; %bb.11:
	v_mov_b32_e32 v11, 0
	v_mov_b32_e32 v0, 0
	;; [unrolled: 1-line block ×3, first 2 shown]
	s_and_b32 s7, s8, 28
	s_add_u32 s0, s2, 0xc4
	s_addc_u32 s1, s3, 0
	s_mov_b32 s9, 0
	s_mov_b64 s[4:5], s[2:3]
.LBB17_12:                              ; =>This Inner Loop Header: Depth=1
	s_clause 0x1
	s_load_dwordx8 s[12:19], s[4:5], 0x4
	s_load_dwordx4 s[36:39], s[4:5], 0x24
	s_load_dwordx8 s[24:31], s[0:1], 0x0
	s_add_u32 s4, s4, 48
	s_addc_u32 s5, s5, 0
	s_add_i32 s9, s9, 4
	s_add_u32 s0, s0, 32
	s_addc_u32 s1, s1, 0
	s_cmp_lg_u32 s7, s9
	s_waitcnt lgkmcnt(0)
	v_mul_hi_u32 v2, s13, v1
	v_add_nc_u32_e32 v2, v1, v2
	v_lshrrev_b32_e32 v2, s14, v2
	v_mul_hi_u32 v3, s16, v2
	v_mul_lo_u32 v7, v2, s12
	v_add_nc_u32_e32 v3, v2, v3
	v_sub_nc_u32_e32 v1, v1, v7
	v_lshrrev_b32_e32 v3, s17, v3
	v_mul_lo_u32 v7, v1, s24
	v_mul_lo_u32 v9, v1, s25
	v_mul_hi_u32 v6, s19, v3
	v_add_nc_u32_e32 v6, v3, v6
	v_lshrrev_b32_e32 v6, s36, v6
	v_mul_hi_u32 v8, s38, v6
	v_mul_lo_u32 v10, v6, s18
	v_add_nc_u32_e32 v1, v6, v8
	v_mul_lo_u32 v8, v3, s15
	v_sub_nc_u32_e32 v3, v3, v10
	v_lshrrev_b32_e32 v1, s39, v1
	v_mul_lo_u32 v10, v3, s28
	v_mul_lo_u32 v3, v3, s29
	v_sub_nc_u32_e32 v2, v2, v8
	v_mul_lo_u32 v12, v1, s37
	v_mul_lo_u32 v8, v2, s26
	;; [unrolled: 1-line block ×3, first 2 shown]
	v_sub_nc_u32_e32 v6, v6, v12
	v_add3_u32 v0, v7, v0, v8
	v_mul_lo_u32 v12, v6, s30
	v_mul_lo_u32 v6, v6, s31
	v_add3_u32 v2, v9, v11, v2
	v_add3_u32 v0, v10, v0, v12
	v_add3_u32 v11, v3, v2, v6
	s_cbranch_scc1 .LBB17_12
; %bb.13:
	s_and_b32 s8, s8, 3
	s_cmp_eq_u32 s8, 0
	s_cbranch_scc0 .LBB17_25
	s_branch .LBB17_27
.LBB17_14:
	s_or_b32 exec_lo, exec_lo, s30
	s_mov_b32 s30, exec_lo
	v_cmpx_gt_i32_e64 s27, v4
	s_cbranch_execz .LBB17_143
.LBB17_15:
	s_andn2_b32 vcc_lo, exec_lo, s24
	s_cbranch_vccnz .LBB17_22
; %bb.16:
	s_andn2_b32 vcc_lo, exec_lo, s29
	s_cbranch_vccnz .LBB17_122
; %bb.17:
	s_add_i32 s33, s28, 1
	s_cmp_eq_u32 s23, 2
	s_cbranch_scc1 .LBB17_151
; %bb.18:
	v_mov_b32_e32 v2, 0
	v_mov_b32_e32 v0, 0
	;; [unrolled: 1-line block ×3, first 2 shown]
	s_and_b32 s31, s33, 28
	s_mov_b32 s34, 0
	s_mov_b64 s[0:1], s[2:3]
	s_mov_b64 s[20:21], s[18:19]
.LBB17_19:                              ; =>This Inner Loop Header: Depth=1
	s_clause 0x1
	s_load_dwordx8 s[36:43], s[0:1], 0x4
	s_load_dwordx4 s[52:55], s[0:1], 0x24
	s_load_dwordx8 s[44:51], s[20:21], 0x0
	s_add_u32 s0, s0, 48
	s_addc_u32 s1, s1, 0
	s_add_i32 s34, s34, 4
	s_add_u32 s20, s20, 32
	s_addc_u32 s21, s21, 0
	s_cmp_eq_u32 s31, s34
	s_waitcnt lgkmcnt(0)
	v_mul_hi_u32 v3, s37, v1
	v_add_nc_u32_e32 v3, v1, v3
	v_lshrrev_b32_e32 v3, s38, v3
	v_mul_hi_u32 v5, s40, v3
	v_mul_lo_u32 v7, v3, s36
	v_add_nc_u32_e32 v5, v3, v5
	v_sub_nc_u32_e32 v1, v1, v7
	v_lshrrev_b32_e32 v5, s41, v5
	v_mul_lo_u32 v7, v1, s44
	v_mul_lo_u32 v9, v1, s45
	v_mul_hi_u32 v6, s43, v5
	v_add_nc_u32_e32 v6, v5, v6
	v_lshrrev_b32_e32 v6, s52, v6
	v_mul_hi_u32 v8, s54, v6
	v_mul_lo_u32 v10, v6, s42
	v_add_nc_u32_e32 v1, v6, v8
	v_mul_lo_u32 v8, v5, s39
	v_sub_nc_u32_e32 v5, v5, v10
	v_lshrrev_b32_e32 v1, s55, v1
	v_mul_lo_u32 v10, v5, s48
	v_mul_lo_u32 v5, v5, s49
	v_sub_nc_u32_e32 v3, v3, v8
	v_mul_lo_u32 v11, v1, s53
	v_mul_lo_u32 v8, v3, s46
	;; [unrolled: 1-line block ×3, first 2 shown]
	v_sub_nc_u32_e32 v6, v6, v11
	v_add3_u32 v0, v7, v0, v8
	v_mul_lo_u32 v11, v6, s50
	v_mul_lo_u32 v6, v6, s51
	v_add3_u32 v2, v9, v2, v3
	v_add3_u32 v0, v10, v0, v11
	;; [unrolled: 1-line block ×3, first 2 shown]
	s_cbranch_scc0 .LBB17_19
	s_branch .LBB17_152
.LBB17_20:
	s_waitcnt lgkmcnt(0)
	s_mov_b32 s6, -1
                                        ; implicit-def: $vgpr0
                                        ; implicit-def: $vgpr11
	s_branch .LBB17_27
.LBB17_21:
                                        ; implicit-def: $vgpr0
                                        ; implicit-def: $vgpr2
	s_branch .LBB17_128
.LBB17_22:
                                        ; implicit-def: $vgpr0
                                        ; implicit-def: $vgpr2
	s_branch .LBB17_156
.LBB17_23:
	v_mov_b32_e32 v0, 0
	v_mov_b32_e32 v11, 0
	s_branch .LBB17_27
.LBB17_24:
	v_mov_b32_e32 v0, 0
	v_mov_b32_e32 v11, 0
	v_mov_b32_e32 v1, v4
	s_mov_b32 s7, 0
	s_and_b32 s8, s8, 3
	s_cmp_eq_u32 s8, 0
	s_cbranch_scc1 .LBB17_27
.LBB17_25:
	s_lshl_b32 s0, s7, 3
	s_mul_i32 s4, s7, 12
	s_add_u32 s0, s2, s0
	s_addc_u32 s1, s3, 0
	s_add_u32 s0, s0, 0xc4
	s_addc_u32 s1, s1, 0
	;; [unrolled: 2-line block ×3, first 2 shown]
	.p2align	6
.LBB17_26:                              ; =>This Inner Loop Header: Depth=1
	s_clause 0x1
	s_load_dwordx2 s[10:11], s[4:5], 0x4
	s_load_dword s7, s[4:5], 0xc
	s_load_dwordx2 s[12:13], s[0:1], 0x0
	s_add_u32 s4, s4, 12
	s_addc_u32 s5, s5, 0
	s_add_u32 s0, s0, 8
	s_addc_u32 s1, s1, 0
	s_add_i32 s8, s8, -1
	s_cmp_lg_u32 s8, 0
	s_waitcnt lgkmcnt(0)
	v_mul_hi_u32 v2, s11, v1
	v_add_nc_u32_e32 v2, v1, v2
	v_lshrrev_b32_e32 v2, s7, v2
	v_mul_lo_u32 v3, v2, s10
	v_sub_nc_u32_e32 v3, v1, v3
	v_mad_u64_u32 v[0:1], null, v3, s12, v[0:1]
	v_mad_u64_u32 v[11:12], null, v3, s13, v[11:12]
	v_mov_b32_e32 v1, v2
	s_cbranch_scc1 .LBB17_26
.LBB17_27:
	s_andn2_b32 vcc_lo, exec_lo, s6
	s_cbranch_vccnz .LBB17_30
; %bb.28:
	s_clause 0x1
	s_load_dwordx4 s[4:7], s[2:3], 0x4
	s_load_dwordx2 s[0:1], s[2:3], 0xc4
	s_cmp_lt_u32 s22, 2
	s_waitcnt lgkmcnt(0)
	v_mul_hi_u32 v0, s5, v4
	v_add_nc_u32_e32 v0, v4, v0
	v_lshrrev_b32_e32 v1, s6, v0
	v_mul_lo_u32 v0, v1, s4
	v_sub_nc_u32_e32 v2, v4, v0
	v_mul_lo_u32 v0, v2, s0
	v_mul_lo_u32 v11, v2, s1
	s_cbranch_scc1 .LBB17_30
; %bb.29:
	s_clause 0x1
	s_load_dwordx4 s[4:7], s[2:3], 0x10
	s_load_dwordx2 s[0:1], s[2:3], 0xcc
	s_waitcnt lgkmcnt(0)
	v_mul_hi_u32 v2, s5, v1
	v_add_nc_u32_e32 v2, v1, v2
	v_lshrrev_b32_e32 v2, s6, v2
	v_mul_lo_u32 v2, v2, s4
	v_sub_nc_u32_e32 v2, v1, v2
	v_mad_u64_u32 v[0:1], null, v2, s0, v[0:1]
	v_mad_u64_u32 v[11:12], null, v2, s1, v[11:12]
.LBB17_30:
	v_cmp_ne_u32_e32 vcc_lo, 1, v5
	v_add_nc_u32_e32 v3, 0x80, v4
	s_cbranch_vccnz .LBB17_36
; %bb.31:
	s_cmp_lg_u32 s22, 0
	s_mov_b32 s6, 0
	s_cbranch_scc0 .LBB17_37
; %bb.32:
	s_min_u32 s8, s23, 15
	s_add_i32 s8, s8, 1
	s_cmp_eq_u32 s23, 2
	s_cbranch_scc1 .LBB17_38
; %bb.33:
	v_mov_b32_e32 v9, 0
	v_mov_b32_e32 v1, 0
	;; [unrolled: 1-line block ×3, first 2 shown]
	s_and_b32 s7, s8, 28
	s_add_u32 s0, s2, 0xc4
	s_addc_u32 s1, s3, 0
	s_mov_b32 s9, 0
	s_mov_b64 s[4:5], s[2:3]
.LBB17_34:                              ; =>This Inner Loop Header: Depth=1
	s_clause 0x1
	s_load_dwordx8 s[12:19], s[4:5], 0x4
	s_load_dwordx4 s[36:39], s[4:5], 0x24
	s_load_dwordx8 s[24:31], s[0:1], 0x0
	s_add_u32 s4, s4, 48
	s_addc_u32 s5, s5, 0
	s_add_i32 s9, s9, 4
	s_add_u32 s0, s0, 32
	s_addc_u32 s1, s1, 0
	s_cmp_lg_u32 s7, s9
	s_waitcnt lgkmcnt(0)
	v_mul_hi_u32 v6, s13, v2
	v_add_nc_u32_e32 v6, v2, v6
	v_lshrrev_b32_e32 v6, s14, v6
	v_mul_hi_u32 v7, s16, v6
	v_mul_lo_u32 v10, v6, s12
	v_add_nc_u32_e32 v7, v6, v7
	v_sub_nc_u32_e32 v2, v2, v10
	v_lshrrev_b32_e32 v7, s17, v7
	v_mul_lo_u32 v10, v2, s24
	v_mul_lo_u32 v14, v2, s25
	v_mul_hi_u32 v8, s19, v7
	v_add_nc_u32_e32 v8, v7, v8
	v_lshrrev_b32_e32 v8, s36, v8
	v_mul_hi_u32 v12, s38, v8
	v_mul_lo_u32 v15, v8, s18
	v_add_nc_u32_e32 v2, v8, v12
	v_mul_lo_u32 v12, v7, s15
	v_sub_nc_u32_e32 v7, v7, v15
	v_lshrrev_b32_e32 v2, s39, v2
	v_mul_lo_u32 v15, v7, s28
	v_mul_lo_u32 v7, v7, s29
	v_sub_nc_u32_e32 v6, v6, v12
	v_mul_lo_u32 v16, v2, s37
	v_mul_lo_u32 v12, v6, s26
	;; [unrolled: 1-line block ×3, first 2 shown]
	v_sub_nc_u32_e32 v8, v8, v16
	v_add3_u32 v1, v10, v1, v12
	v_mul_lo_u32 v16, v8, s30
	v_mul_lo_u32 v8, v8, s31
	v_add3_u32 v6, v14, v9, v6
	v_add3_u32 v1, v15, v1, v16
	;; [unrolled: 1-line block ×3, first 2 shown]
	s_cbranch_scc1 .LBB17_34
; %bb.35:
	s_and_b32 s8, s8, 3
	s_cmp_eq_u32 s8, 0
	s_cbranch_scc0 .LBB17_39
	s_branch .LBB17_41
.LBB17_36:
	s_mov_b32 s6, -1
                                        ; implicit-def: $vgpr1
                                        ; implicit-def: $vgpr9
	s_branch .LBB17_41
.LBB17_37:
	v_mov_b32_e32 v1, 0
	v_mov_b32_e32 v9, 0
	s_branch .LBB17_41
.LBB17_38:
	v_mov_b32_e32 v1, 0
	v_mov_b32_e32 v9, 0
	;; [unrolled: 1-line block ×3, first 2 shown]
	s_mov_b32 s7, 0
	s_and_b32 s8, s8, 3
	s_cmp_eq_u32 s8, 0
	s_cbranch_scc1 .LBB17_41
.LBB17_39:
	s_lshl_b32 s0, s7, 3
	s_mul_i32 s4, s7, 12
	s_add_u32 s0, s2, s0
	s_addc_u32 s1, s3, 0
	s_add_u32 s0, s0, 0xc4
	s_addc_u32 s1, s1, 0
	;; [unrolled: 2-line block ×3, first 2 shown]
	.p2align	6
.LBB17_40:                              ; =>This Inner Loop Header: Depth=1
	s_clause 0x1
	s_load_dwordx2 s[10:11], s[4:5], 0x4
	s_load_dword s7, s[4:5], 0xc
	s_load_dwordx2 s[12:13], s[0:1], 0x0
	s_add_u32 s4, s4, 12
	s_addc_u32 s5, s5, 0
	s_add_u32 s0, s0, 8
	s_addc_u32 s1, s1, 0
	s_add_i32 s8, s8, -1
	s_cmp_lg_u32 s8, 0
	s_waitcnt lgkmcnt(0)
	v_mul_hi_u32 v6, s11, v2
	v_add_nc_u32_e32 v6, v2, v6
	v_lshrrev_b32_e32 v6, s7, v6
	v_mul_lo_u32 v7, v6, s10
	v_sub_nc_u32_e32 v7, v2, v7
	v_mad_u64_u32 v[1:2], null, v7, s12, v[1:2]
	v_mad_u64_u32 v[9:10], null, v7, s13, v[9:10]
	v_mov_b32_e32 v2, v6
	s_cbranch_scc1 .LBB17_40
.LBB17_41:
	s_andn2_b32 vcc_lo, exec_lo, s6
	s_cbranch_vccnz .LBB17_44
; %bb.42:
	s_clause 0x1
	s_load_dwordx4 s[4:7], s[2:3], 0x4
	s_load_dwordx2 s[0:1], s[2:3], 0xc4
	s_cmp_lt_u32 s22, 2
	s_waitcnt lgkmcnt(0)
	v_mul_hi_u32 v1, s5, v3
	v_add_nc_u32_e32 v1, v3, v1
	v_lshrrev_b32_e32 v2, s6, v1
	v_mul_lo_u32 v1, v2, s4
	v_sub_nc_u32_e32 v3, v3, v1
	v_mul_lo_u32 v1, v3, s0
	v_mul_lo_u32 v9, v3, s1
	s_cbranch_scc1 .LBB17_44
; %bb.43:
	s_clause 0x1
	s_load_dwordx4 s[4:7], s[2:3], 0x10
	s_load_dwordx2 s[0:1], s[2:3], 0xcc
	s_waitcnt lgkmcnt(0)
	v_mul_hi_u32 v3, s5, v2
	v_add_nc_u32_e32 v3, v2, v3
	v_lshrrev_b32_e32 v3, s6, v3
	v_mul_lo_u32 v3, v3, s4
	v_sub_nc_u32_e32 v3, v2, v3
	v_mad_u64_u32 v[1:2], null, v3, s0, v[1:2]
	v_mad_u64_u32 v[9:10], null, v3, s1, v[9:10]
.LBB17_44:
	v_cmp_ne_u32_e32 vcc_lo, 1, v5
	v_add_nc_u32_e32 v4, 0x100, v4
	s_cbranch_vccnz .LBB17_50
; %bb.45:
	s_cmp_lg_u32 s22, 0
	s_mov_b32 s6, 0
	s_cbranch_scc0 .LBB17_51
; %bb.46:
	s_min_u32 s8, s23, 15
	s_add_i32 s8, s8, 1
	s_cmp_eq_u32 s23, 2
	s_cbranch_scc1 .LBB17_52
; %bb.47:
	v_mov_b32_e32 v7, 0
	v_mov_b32_e32 v2, 0
	;; [unrolled: 1-line block ×3, first 2 shown]
	s_and_b32 s7, s8, 28
	s_add_u32 s0, s2, 0xc4
	s_addc_u32 s1, s3, 0
	s_mov_b32 s9, 0
	s_mov_b64 s[4:5], s[2:3]
.LBB17_48:                              ; =>This Inner Loop Header: Depth=1
	s_clause 0x1
	s_load_dwordx8 s[12:19], s[4:5], 0x4
	s_load_dwordx4 s[36:39], s[4:5], 0x24
	s_load_dwordx8 s[24:31], s[0:1], 0x0
	s_add_u32 s4, s4, 48
	s_addc_u32 s5, s5, 0
	s_add_i32 s9, s9, 4
	s_add_u32 s0, s0, 32
	s_addc_u32 s1, s1, 0
	s_cmp_lg_u32 s7, s9
	s_waitcnt lgkmcnt(0)
	v_mul_hi_u32 v6, s13, v3
	v_add_nc_u32_e32 v6, v3, v6
	v_lshrrev_b32_e32 v6, s14, v6
	v_mul_hi_u32 v8, s16, v6
	v_mul_lo_u32 v12, v6, s12
	v_add_nc_u32_e32 v8, v6, v8
	v_sub_nc_u32_e32 v3, v3, v12
	v_lshrrev_b32_e32 v8, s17, v8
	v_mul_lo_u32 v12, v3, s24
	v_mul_lo_u32 v15, v3, s25
	v_mul_hi_u32 v10, s19, v8
	v_add_nc_u32_e32 v10, v8, v10
	v_lshrrev_b32_e32 v10, s36, v10
	v_mul_hi_u32 v14, s38, v10
	v_mul_lo_u32 v16, v10, s18
	v_add_nc_u32_e32 v3, v10, v14
	v_mul_lo_u32 v14, v8, s15
	v_sub_nc_u32_e32 v8, v8, v16
	v_lshrrev_b32_e32 v3, s39, v3
	v_mul_lo_u32 v16, v8, s28
	v_mul_lo_u32 v8, v8, s29
	v_sub_nc_u32_e32 v6, v6, v14
	v_mul_lo_u32 v17, v3, s37
	v_mul_lo_u32 v14, v6, s26
	;; [unrolled: 1-line block ×3, first 2 shown]
	v_sub_nc_u32_e32 v10, v10, v17
	v_add3_u32 v2, v12, v2, v14
	v_mul_lo_u32 v17, v10, s30
	v_mul_lo_u32 v10, v10, s31
	v_add3_u32 v6, v15, v7, v6
	v_add3_u32 v2, v16, v2, v17
	;; [unrolled: 1-line block ×3, first 2 shown]
	s_cbranch_scc1 .LBB17_48
; %bb.49:
	s_and_b32 s8, s8, 3
	s_cmp_eq_u32 s8, 0
	s_cbranch_scc0 .LBB17_53
	s_branch .LBB17_55
.LBB17_50:
	s_mov_b32 s6, -1
                                        ; implicit-def: $vgpr2
                                        ; implicit-def: $vgpr7
	s_branch .LBB17_55
.LBB17_51:
	v_mov_b32_e32 v2, 0
	v_mov_b32_e32 v7, 0
	s_branch .LBB17_55
.LBB17_52:
	v_mov_b32_e32 v2, 0
	v_mov_b32_e32 v7, 0
	;; [unrolled: 1-line block ×3, first 2 shown]
	s_mov_b32 s7, 0
	s_and_b32 s8, s8, 3
	s_cmp_eq_u32 s8, 0
	s_cbranch_scc1 .LBB17_55
.LBB17_53:
	s_lshl_b32 s0, s7, 3
	s_mul_i32 s4, s7, 12
	s_add_u32 s0, s2, s0
	s_addc_u32 s1, s3, 0
	s_add_u32 s0, s0, 0xc4
	s_addc_u32 s1, s1, 0
	;; [unrolled: 2-line block ×3, first 2 shown]
	.p2align	6
.LBB17_54:                              ; =>This Inner Loop Header: Depth=1
	s_clause 0x1
	s_load_dwordx2 s[10:11], s[4:5], 0x4
	s_load_dword s7, s[4:5], 0xc
	s_load_dwordx2 s[12:13], s[0:1], 0x0
	s_add_u32 s4, s4, 12
	s_addc_u32 s5, s5, 0
	s_add_u32 s0, s0, 8
	s_addc_u32 s1, s1, 0
	s_add_i32 s8, s8, -1
	s_cmp_lg_u32 s8, 0
	s_waitcnt lgkmcnt(0)
	v_mul_hi_u32 v6, s11, v3
	v_add_nc_u32_e32 v6, v3, v6
	v_lshrrev_b32_e32 v6, s7, v6
	v_mul_lo_u32 v8, v6, s10
	v_sub_nc_u32_e32 v8, v3, v8
	v_mad_u64_u32 v[2:3], null, v8, s12, v[2:3]
	v_mad_u64_u32 v[7:8], null, v8, s13, v[7:8]
	v_mov_b32_e32 v3, v6
	s_cbranch_scc1 .LBB17_54
.LBB17_55:
	s_andn2_b32 vcc_lo, exec_lo, s6
	s_cbranch_vccnz .LBB17_58
; %bb.56:
	s_clause 0x1
	s_load_dwordx4 s[4:7], s[2:3], 0x4
	s_load_dwordx2 s[0:1], s[2:3], 0xc4
	s_cmp_lt_u32 s22, 2
	s_waitcnt lgkmcnt(0)
	v_mul_hi_u32 v2, s5, v4
	v_add_nc_u32_e32 v2, v4, v2
	v_lshrrev_b32_e32 v3, s6, v2
	v_mul_lo_u32 v2, v3, s4
	v_sub_nc_u32_e32 v4, v4, v2
	v_mul_lo_u32 v2, v4, s0
	v_mul_lo_u32 v7, v4, s1
	s_cbranch_scc1 .LBB17_58
; %bb.57:
	s_clause 0x1
	s_load_dwordx4 s[4:7], s[2:3], 0x10
	s_load_dwordx2 s[0:1], s[2:3], 0xcc
	s_waitcnt lgkmcnt(0)
	v_mul_hi_u32 v4, s5, v3
	v_add_nc_u32_e32 v4, v3, v4
	v_lshrrev_b32_e32 v4, s6, v4
	v_mul_lo_u32 v4, v4, s4
	v_sub_nc_u32_e32 v4, v3, v4
	v_mad_u64_u32 v[2:3], null, v4, s0, v[2:3]
	v_mad_u64_u32 v[7:8], null, v4, s1, v[7:8]
.LBB17_58:
	v_cmp_ne_u32_e32 vcc_lo, 1, v5
	s_cbranch_vccnz .LBB17_64
; %bb.59:
	s_cmp_lg_u32 s22, 0
	s_mov_b32 s6, 0
	s_cbranch_scc0 .LBB17_65
; %bb.60:
	s_min_u32 s8, s23, 15
	s_add_i32 s8, s8, 1
	s_cmp_eq_u32 s23, 2
	s_cbranch_scc1 .LBB17_66
; %bb.61:
	v_mov_b32_e32 v5, 0
	v_mov_b32_e32 v3, 0
	;; [unrolled: 1-line block ×3, first 2 shown]
	s_and_b32 s7, s8, 28
	s_add_u32 s0, s2, 0xc4
	s_addc_u32 s1, s3, 0
	s_mov_b32 s9, 0
	s_mov_b64 s[4:5], s[2:3]
.LBB17_62:                              ; =>This Inner Loop Header: Depth=1
	s_clause 0x1
	s_load_dwordx8 s[12:19], s[4:5], 0x4
	s_load_dwordx4 s[36:39], s[4:5], 0x24
	s_load_dwordx8 s[24:31], s[0:1], 0x0
	s_add_u32 s4, s4, 48
	s_addc_u32 s5, s5, 0
	s_add_i32 s9, s9, 4
	s_add_u32 s0, s0, 32
	s_addc_u32 s1, s1, 0
	s_cmp_lg_u32 s7, s9
	s_waitcnt lgkmcnt(0)
	v_mul_hi_u32 v6, s13, v4
	v_add_nc_u32_e32 v6, v4, v6
	v_lshrrev_b32_e32 v6, s14, v6
	v_mul_hi_u32 v8, s16, v6
	v_mul_lo_u32 v12, v6, s12
	v_add_nc_u32_e32 v8, v6, v8
	v_sub_nc_u32_e32 v4, v4, v12
	v_lshrrev_b32_e32 v8, s17, v8
	v_mul_lo_u32 v12, v4, s24
	v_mul_lo_u32 v15, v4, s25
	v_mul_hi_u32 v10, s19, v8
	v_add_nc_u32_e32 v10, v8, v10
	v_lshrrev_b32_e32 v10, s36, v10
	v_mul_hi_u32 v14, s38, v10
	v_mul_lo_u32 v16, v10, s18
	v_add_nc_u32_e32 v4, v10, v14
	v_mul_lo_u32 v14, v8, s15
	v_sub_nc_u32_e32 v8, v8, v16
	v_lshrrev_b32_e32 v4, s39, v4
	v_mul_lo_u32 v16, v8, s28
	v_mul_lo_u32 v8, v8, s29
	v_sub_nc_u32_e32 v6, v6, v14
	v_mul_lo_u32 v17, v4, s37
	v_mul_lo_u32 v14, v6, s26
	;; [unrolled: 1-line block ×3, first 2 shown]
	v_sub_nc_u32_e32 v10, v10, v17
	v_add3_u32 v3, v12, v3, v14
	v_mul_lo_u32 v17, v10, s30
	v_mul_lo_u32 v10, v10, s31
	v_add3_u32 v5, v15, v5, v6
	v_add3_u32 v3, v16, v3, v17
	;; [unrolled: 1-line block ×3, first 2 shown]
	s_cbranch_scc1 .LBB17_62
; %bb.63:
	s_and_b32 s8, s8, 3
	s_cmp_eq_u32 s8, 0
	s_cbranch_scc0 .LBB17_67
	s_branch .LBB17_69
.LBB17_64:
	s_mov_b32 s6, -1
                                        ; implicit-def: $vgpr3
                                        ; implicit-def: $vgpr5
	s_branch .LBB17_69
.LBB17_65:
	v_mov_b32_e32 v3, 0
	v_mov_b32_e32 v5, 0
	s_branch .LBB17_69
.LBB17_66:
	v_mov_b32_e32 v3, 0
	v_mov_b32_e32 v5, 0
	;; [unrolled: 1-line block ×3, first 2 shown]
	s_mov_b32 s7, 0
	s_and_b32 s8, s8, 3
	s_cmp_eq_u32 s8, 0
	s_cbranch_scc1 .LBB17_69
.LBB17_67:
	s_lshl_b32 s0, s7, 3
	s_mul_i32 s4, s7, 12
	s_add_u32 s0, s2, s0
	s_addc_u32 s1, s3, 0
	s_add_u32 s0, s0, 0xc4
	s_addc_u32 s1, s1, 0
	;; [unrolled: 2-line block ×3, first 2 shown]
	.p2align	6
.LBB17_68:                              ; =>This Inner Loop Header: Depth=1
	s_clause 0x1
	s_load_dwordx2 s[10:11], s[4:5], 0x4
	s_load_dword s7, s[4:5], 0xc
	s_load_dwordx2 s[12:13], s[0:1], 0x0
	s_add_u32 s4, s4, 12
	s_addc_u32 s5, s5, 0
	s_add_u32 s0, s0, 8
	s_addc_u32 s1, s1, 0
	s_add_i32 s8, s8, -1
	s_cmp_lg_u32 s8, 0
	s_waitcnt lgkmcnt(0)
	v_mul_hi_u32 v6, s11, v4
	v_add_nc_u32_e32 v6, v4, v6
	v_lshrrev_b32_e32 v8, s7, v6
	v_mul_lo_u32 v6, v8, s10
	v_sub_nc_u32_e32 v6, v4, v6
	v_mad_u64_u32 v[3:4], null, v6, s12, v[3:4]
	v_mad_u64_u32 v[5:6], null, v6, s13, v[5:6]
	v_mov_b32_e32 v4, v8
	s_cbranch_scc1 .LBB17_68
.LBB17_69:
	s_andn2_b32 vcc_lo, exec_lo, s6
	s_cbranch_vccnz .LBB17_72
; %bb.70:
	s_clause 0x1
	s_load_dwordx4 s[4:7], s[2:3], 0x4
	s_load_dwordx2 s[0:1], s[2:3], 0xc4
	s_cmp_lt_u32 s22, 2
	s_waitcnt lgkmcnt(0)
	v_mul_hi_u32 v3, s5, v13
	v_add_nc_u32_e32 v3, v13, v3
	v_lshrrev_b32_e32 v4, s6, v3
	v_mul_lo_u32 v3, v4, s4
	v_sub_nc_u32_e32 v5, v13, v3
	v_mul_lo_u32 v3, v5, s0
	v_mul_lo_u32 v5, v5, s1
	s_cbranch_scc1 .LBB17_72
; %bb.71:
	s_clause 0x1
	s_load_dwordx4 s[4:7], s[2:3], 0x10
	s_load_dwordx2 s[0:1], s[2:3], 0xcc
	s_waitcnt lgkmcnt(0)
	v_mul_hi_u32 v6, s5, v4
	v_add_nc_u32_e32 v6, v4, v6
	v_lshrrev_b32_e32 v6, s6, v6
	v_mul_lo_u32 v6, v6, s4
	v_sub_nc_u32_e32 v6, v4, v6
	v_mad_u64_u32 v[3:4], null, v6, s0, v[3:4]
	v_mad_u64_u32 v[5:6], null, v6, s1, v[5:6]
.LBB17_72:
	s_load_dwordx4 s[4:7], s[2:3], 0x148
	s_mov_b32 s1, exec_lo
                                        ; implicit-def: $vgpr4
	s_waitcnt lgkmcnt(0)
	global_load_dword v6, v11, s[6:7]
	s_waitcnt vmcnt(0)
	v_cmpx_ge_f32_e64 0x41000000, |v6|
	s_xor_b32 s1, exec_lo, s1
	s_cbranch_execz .LBB17_78
; %bb.73:
	v_fma_f32 v4, |v6|, 0.5, -2.0
	s_mov_b32 s0, 0x224cf950
	v_mul_f32_e64 v11, 0x3fb8aa3b, |v6|
	v_cmp_ngt_f32_e64 vcc_lo, 0xc2ce8ed0, |v6|
	v_fmaak_f32 v8, s0, v4, 0xa3c2be86
	v_cmp_nlt_f32_e64 s0, 0x42b17218, |v6|
	v_rndne_f32_e32 v12, v11
	v_fma_f32 v13, 0x3fb8aa3b, |v6|, -v11
	v_fmaak_f32 v10, v4, v8, 0xa24cf950
	v_sub_f32_e32 v11, v11, v12
	v_fma_f32 v13, 0x32a5705f, |v6|, v13
	v_add_f32_e32 v10, 0x25331f1f, v10
	v_add_f32_e32 v11, v11, v13
	v_fma_f32 v8, v4, v10, -v8
	v_add_f32_e32 v8, 0xa69f5554, v8
	v_fma_f32 v10, v4, v8, -v10
	;; [unrolled: 2-line block ×26, first 2 shown]
	v_exp_f32_e32 v8, v11
	v_cvt_i32_f32_e32 v11, v12
	v_add_f32_e32 v4, 0x3e81531c, v4
	v_sub_f32_e32 v4, v4, v10
	v_ldexp_f32 v8, v8, v11
	v_mul_f32_e32 v4, 0.5, v4
	v_cndmask_b32_e32 v10, 0, v8, vcc_lo
	v_cmp_ngt_f32_e32 vcc_lo, 0, v6
	v_mul_f32_e64 v8, |v6|, v4
	v_cndmask_b32_e64 v6, 0x7f800000, v10, s0
                                        ; implicit-def: $vgpr4
	s_and_saveexec_b32 s0, vcc_lo
	s_xor_b32 s0, exec_lo, s0
; %bb.74:
	v_mul_f32_e32 v4, v6, v8
                                        ; implicit-def: $vgpr6
                                        ; implicit-def: $vgpr8
; %bb.75:
	s_andn2_saveexec_b32 s0, s0
; %bb.76:
	v_mul_f32_e64 v4, v8, -v6
; %bb.77:
	s_or_b32 exec_lo, exec_lo, s0
                                        ; implicit-def: $vgpr6
.LBB17_78:
	s_andn2_saveexec_b32 s1, s1
	s_cbranch_execz .LBB17_84
; %bb.79:
	v_and_b32_e32 v4, 0x7fffffff, v6
	s_mov_b32 s0, 0x230aab6e
	v_div_scale_f32 v8, null, v4, v4, 0x42000000
	v_div_scale_f32 v4, vcc_lo, 0x42000000, v4, 0x42000000
	v_rcp_f32_e32 v10, v8
	v_fma_f32 v11, -v8, v10, 1.0
	v_fmac_f32_e32 v10, v11, v10
	v_mul_f32_e32 v11, v4, v10
	v_fma_f32 v12, -v8, v11, v4
	v_fmac_f32_e32 v11, v12, v10
	v_fma_f32 v4, -v8, v11, v4
	v_div_fmas_f32 v4, v4, v10, v11
	v_mul_f32_e64 v11, 0x3fb8aa3b, |v6|
	v_cmp_ngt_f32_e64 vcc_lo, 0xc2ce8ed0, |v6|
	v_div_fixup_f32 v4, v4, |v6|, 0x42000000
	v_rndne_f32_e32 v12, v11
	v_fma_f32 v13, 0x3fb8aa3b, |v6|, -v11
	v_add_f32_e32 v4, -2.0, v4
	v_sub_f32_e32 v11, v11, v12
	v_fma_f32 v13, 0x32a5705f, |v6|, v13
	v_cvt_i32_f32_e32 v12, v12
	v_fmaak_f32 v8, s0, v4, 0x22a2dc57
	v_cmp_nlt_f32_e64 s0, 0x42b17218, |v6|
	v_add_f32_e32 v11, v11, v13
	v_fmaak_f32 v10, v4, v8, 0xa30aab6e
	v_exp_f32_e32 v11, v11
	v_add_f32_e32 v10, 0xa456751e, v10
	v_fma_f32 v8, v4, v10, -v8
	v_ldexp_f32 v11, v11, v12
	v_add_f32_e32 v8, 0xa4140365, v8
	v_fma_f32 v10, v4, v8, -v10
	v_add_f32_e32 v10, 0x25aac8b0, v10
	v_fma_f32 v8, v4, v10, -v8
	;; [unrolled: 2-line block ×21, first 2 shown]
	v_cndmask_b32_e32 v8, 0, v11, vcc_lo
	v_mul_f32_e64 v11, 0x4f800000, |v6|
	v_add_f32_e32 v4, 0x3f4750c6, v4
	v_cndmask_b32_e64 v8, 0x7f800000, v8, s0
	s_mov_b32 s0, exec_lo
	v_sub_f32_e32 v10, v4, v10
                                        ; implicit-def: $vgpr4
	v_cmpx_ngt_f32_e32 0, v6
	s_xor_b32 s2, exec_lo, s0
	s_cbranch_execz .LBB17_81
; %bb.80:
	v_cmp_gt_f32_e64 vcc_lo, 0xf800000, |v6|
	v_mul_f32_e32 v10, 0.5, v10
	v_cndmask_b32_e64 v4, |v6|, v11, vcc_lo
	v_mul_f32_e32 v8, v8, v10
	v_sqrt_f32_e32 v6, v4
	v_add_nc_u32_e32 v11, -1, v6
	v_add_nc_u32_e32 v12, 1, v6
	v_fma_f32 v13, -v11, v6, v4
	v_fma_f32 v14, -v12, v6, v4
	v_cmp_ge_f32_e64 s0, 0, v13
	v_cndmask_b32_e64 v6, v6, v11, s0
	v_cmp_lt_f32_e64 s0, 0, v14
	v_cndmask_b32_e64 v6, v6, v12, s0
	v_mul_f32_e32 v11, 0x37800000, v6
	v_cndmask_b32_e32 v6, v6, v11, vcc_lo
	v_cmp_class_f32_e64 vcc_lo, v4, 0x260
	v_cndmask_b32_e32 v4, v6, v4, vcc_lo
	v_div_scale_f32 v6, null, v4, v4, v8
	v_rcp_f32_e32 v10, v6
	v_fma_f32 v11, -v6, v10, 1.0
	v_fmac_f32_e32 v10, v11, v10
	v_div_scale_f32 v11, vcc_lo, v8, v4, v8
	v_mul_f32_e32 v12, v11, v10
	v_fma_f32 v13, -v6, v12, v11
	v_fmac_f32_e32 v12, v13, v10
	v_fma_f32 v6, -v6, v12, v11
                                        ; implicit-def: $vgpr11
	v_div_fmas_f32 v6, v6, v10, v12
                                        ; implicit-def: $vgpr10
	v_div_fixup_f32 v4, v6, v4, v8
                                        ; implicit-def: $vgpr6
                                        ; implicit-def: $vgpr8
.LBB17_81:
	s_andn2_saveexec_b32 s2, s2
	s_cbranch_execz .LBB17_83
; %bb.82:
	v_cmp_gt_f32_e64 vcc_lo, 0xf800000, |v6|
	v_mul_f32_e32 v10, -0.5, v10
	v_cndmask_b32_e64 v4, |v6|, v11, vcc_lo
	v_mul_f32_e32 v8, v8, v10
	v_sqrt_f32_e32 v6, v4
	v_add_nc_u32_e32 v11, -1, v6
	v_add_nc_u32_e32 v12, 1, v6
	v_fma_f32 v13, -v11, v6, v4
	v_fma_f32 v14, -v12, v6, v4
	v_cmp_ge_f32_e64 s0, 0, v13
	v_cndmask_b32_e64 v6, v6, v11, s0
	v_cmp_lt_f32_e64 s0, 0, v14
	v_cndmask_b32_e64 v6, v6, v12, s0
	v_mul_f32_e32 v11, 0x37800000, v6
	v_cndmask_b32_e32 v6, v6, v11, vcc_lo
	v_cmp_class_f32_e64 vcc_lo, v4, 0x260
	v_cndmask_b32_e32 v4, v6, v4, vcc_lo
	v_div_scale_f32 v6, null, v4, v4, v8
	v_rcp_f32_e32 v10, v6
	v_fma_f32 v11, -v6, v10, 1.0
	v_fmac_f32_e32 v10, v11, v10
	v_div_scale_f32 v11, vcc_lo, v8, v4, v8
	v_mul_f32_e32 v12, v11, v10
	v_fma_f32 v13, -v6, v12, v11
	v_fmac_f32_e32 v12, v13, v10
	v_fma_f32 v6, -v6, v12, v11
	v_div_fmas_f32 v6, v6, v10, v12
	v_div_fixup_f32 v4, v6, v4, v8
.LBB17_83:
	s_or_b32 exec_lo, exec_lo, s2
.LBB17_84:
	s_or_b32 exec_lo, exec_lo, s1
	global_load_dword v8, v9, s[6:7]
	s_mov_b32 s1, exec_lo
                                        ; implicit-def: $vgpr6
	s_waitcnt vmcnt(0)
	v_cmpx_ge_f32_e64 0x41000000, |v8|
	s_xor_b32 s1, exec_lo, s1
	s_cbranch_execz .LBB17_90
; %bb.85:
	v_fma_f32 v6, |v8|, 0.5, -2.0
	s_mov_b32 s0, 0x224cf950
	v_mul_f32_e64 v11, 0x3fb8aa3b, |v8|
	v_cmp_ngt_f32_e64 vcc_lo, 0xc2ce8ed0, |v8|
	v_fmaak_f32 v9, s0, v6, 0xa3c2be86
	v_cmp_nlt_f32_e64 s0, 0x42b17218, |v8|
	v_rndne_f32_e32 v12, v11
	v_fma_f32 v13, 0x3fb8aa3b, |v8|, -v11
	v_fmaak_f32 v10, v6, v9, 0xa24cf950
	v_sub_f32_e32 v11, v11, v12
	v_fma_f32 v13, 0x32a5705f, |v8|, v13
	v_add_f32_e32 v10, 0x25331f1f, v10
	v_add_f32_e32 v11, v11, v13
	v_fma_f32 v9, v6, v10, -v9
	v_add_f32_e32 v9, 0xa69f5554, v9
	v_fma_f32 v10, v6, v9, -v10
	;; [unrolled: 2-line block ×26, first 2 shown]
	v_exp_f32_e32 v9, v11
	v_cvt_i32_f32_e32 v11, v12
	v_add_f32_e32 v6, 0x3e81531c, v6
	v_sub_f32_e32 v6, v6, v10
	v_ldexp_f32 v9, v9, v11
	v_mul_f32_e32 v6, 0.5, v6
	v_cndmask_b32_e32 v10, 0, v9, vcc_lo
	v_cmp_ngt_f32_e32 vcc_lo, 0, v8
	v_mul_f32_e64 v9, |v8|, v6
	v_cndmask_b32_e64 v8, 0x7f800000, v10, s0
                                        ; implicit-def: $vgpr6
	s_and_saveexec_b32 s0, vcc_lo
	s_xor_b32 s0, exec_lo, s0
; %bb.86:
	v_mul_f32_e32 v6, v8, v9
                                        ; implicit-def: $vgpr8
                                        ; implicit-def: $vgpr9
; %bb.87:
	s_andn2_saveexec_b32 s0, s0
; %bb.88:
	v_mul_f32_e64 v6, v9, -v8
; %bb.89:
	s_or_b32 exec_lo, exec_lo, s0
                                        ; implicit-def: $vgpr8
.LBB17_90:
	s_andn2_saveexec_b32 s1, s1
	s_cbranch_execz .LBB17_96
; %bb.91:
	v_and_b32_e32 v6, 0x7fffffff, v8
	s_mov_b32 s0, 0x230aab6e
	v_div_scale_f32 v9, null, v6, v6, 0x42000000
	v_div_scale_f32 v6, vcc_lo, 0x42000000, v6, 0x42000000
	v_rcp_f32_e32 v10, v9
	v_fma_f32 v11, -v9, v10, 1.0
	v_fmac_f32_e32 v10, v11, v10
	v_mul_f32_e32 v11, v6, v10
	v_fma_f32 v12, -v9, v11, v6
	v_fmac_f32_e32 v11, v12, v10
	v_fma_f32 v6, -v9, v11, v6
	v_div_fmas_f32 v6, v6, v10, v11
	v_mul_f32_e64 v11, 0x3fb8aa3b, |v8|
	v_cmp_ngt_f32_e64 vcc_lo, 0xc2ce8ed0, |v8|
	v_div_fixup_f32 v6, v6, |v8|, 0x42000000
	v_rndne_f32_e32 v12, v11
	v_fma_f32 v13, 0x3fb8aa3b, |v8|, -v11
	v_add_f32_e32 v6, -2.0, v6
	v_sub_f32_e32 v11, v11, v12
	v_fma_f32 v13, 0x32a5705f, |v8|, v13
	v_cvt_i32_f32_e32 v12, v12
	v_fmaak_f32 v9, s0, v6, 0x22a2dc57
	v_cmp_nlt_f32_e64 s0, 0x42b17218, |v8|
	v_add_f32_e32 v11, v11, v13
	v_fmaak_f32 v10, v6, v9, 0xa30aab6e
	v_exp_f32_e32 v11, v11
	v_add_f32_e32 v10, 0xa456751e, v10
	v_fma_f32 v9, v6, v10, -v9
	v_ldexp_f32 v11, v11, v12
	v_add_f32_e32 v9, 0xa4140365, v9
	v_fma_f32 v10, v6, v9, -v10
	v_add_f32_e32 v10, 0x25aac8b0, v10
	v_fma_f32 v9, v6, v10, -v9
	;; [unrolled: 2-line block ×21, first 2 shown]
	v_cndmask_b32_e32 v9, 0, v11, vcc_lo
	v_mul_f32_e64 v11, 0x4f800000, |v8|
	v_add_f32_e32 v6, 0x3f4750c6, v6
	v_cndmask_b32_e64 v9, 0x7f800000, v9, s0
	s_mov_b32 s0, exec_lo
	v_sub_f32_e32 v10, v6, v10
                                        ; implicit-def: $vgpr6
	v_cmpx_ngt_f32_e32 0, v8
	s_xor_b32 s2, exec_lo, s0
	s_cbranch_execz .LBB17_93
; %bb.92:
	v_cmp_gt_f32_e64 vcc_lo, 0xf800000, |v8|
	v_mul_f32_e32 v10, 0.5, v10
	v_cndmask_b32_e64 v6, |v8|, v11, vcc_lo
	v_mul_f32_e32 v9, v9, v10
	v_sqrt_f32_e32 v8, v6
	v_add_nc_u32_e32 v11, -1, v8
	v_add_nc_u32_e32 v12, 1, v8
	v_fma_f32 v13, -v11, v8, v6
	v_fma_f32 v14, -v12, v8, v6
	v_cmp_ge_f32_e64 s0, 0, v13
	v_cndmask_b32_e64 v8, v8, v11, s0
	v_cmp_lt_f32_e64 s0, 0, v14
	v_cndmask_b32_e64 v8, v8, v12, s0
	v_mul_f32_e32 v11, 0x37800000, v8
	v_cndmask_b32_e32 v8, v8, v11, vcc_lo
	v_cmp_class_f32_e64 vcc_lo, v6, 0x260
	v_cndmask_b32_e32 v6, v8, v6, vcc_lo
	v_div_scale_f32 v8, null, v6, v6, v9
	v_rcp_f32_e32 v10, v8
	v_fma_f32 v11, -v8, v10, 1.0
	v_fmac_f32_e32 v10, v11, v10
	v_div_scale_f32 v11, vcc_lo, v9, v6, v9
	v_mul_f32_e32 v12, v11, v10
	v_fma_f32 v13, -v8, v12, v11
	v_fmac_f32_e32 v12, v13, v10
	v_fma_f32 v8, -v8, v12, v11
                                        ; implicit-def: $vgpr11
	v_div_fmas_f32 v8, v8, v10, v12
                                        ; implicit-def: $vgpr10
	v_div_fixup_f32 v6, v8, v6, v9
                                        ; implicit-def: $vgpr8
                                        ; implicit-def: $vgpr9
.LBB17_93:
	s_andn2_saveexec_b32 s2, s2
	s_cbranch_execz .LBB17_95
; %bb.94:
	v_cmp_gt_f32_e64 vcc_lo, 0xf800000, |v8|
	v_mul_f32_e32 v10, -0.5, v10
	v_cndmask_b32_e64 v6, |v8|, v11, vcc_lo
	v_mul_f32_e32 v9, v9, v10
	v_sqrt_f32_e32 v8, v6
	v_add_nc_u32_e32 v11, -1, v8
	v_add_nc_u32_e32 v12, 1, v8
	v_fma_f32 v13, -v11, v8, v6
	v_fma_f32 v14, -v12, v8, v6
	v_cmp_ge_f32_e64 s0, 0, v13
	v_cndmask_b32_e64 v8, v8, v11, s0
	v_cmp_lt_f32_e64 s0, 0, v14
	v_cndmask_b32_e64 v8, v8, v12, s0
	v_mul_f32_e32 v11, 0x37800000, v8
	v_cndmask_b32_e32 v8, v8, v11, vcc_lo
	v_cmp_class_f32_e64 vcc_lo, v6, 0x260
	v_cndmask_b32_e32 v6, v8, v6, vcc_lo
	v_div_scale_f32 v8, null, v6, v6, v9
	v_rcp_f32_e32 v10, v8
	v_fma_f32 v11, -v8, v10, 1.0
	v_fmac_f32_e32 v10, v11, v10
	v_div_scale_f32 v11, vcc_lo, v9, v6, v9
	v_mul_f32_e32 v12, v11, v10
	v_fma_f32 v13, -v8, v12, v11
	v_fmac_f32_e32 v12, v13, v10
	v_fma_f32 v8, -v8, v12, v11
	v_div_fmas_f32 v8, v8, v10, v12
	v_div_fixup_f32 v6, v8, v6, v9
.LBB17_95:
	s_or_b32 exec_lo, exec_lo, s2
.LBB17_96:
	s_or_b32 exec_lo, exec_lo, s1
	global_load_dword v8, v7, s[6:7]
	s_mov_b32 s1, exec_lo
                                        ; implicit-def: $vgpr7
	s_waitcnt vmcnt(0)
	v_cmpx_ge_f32_e64 0x41000000, |v8|
	s_xor_b32 s1, exec_lo, s1
	s_cbranch_execz .LBB17_102
; %bb.97:
	v_fma_f32 v7, |v8|, 0.5, -2.0
	s_mov_b32 s0, 0x224cf950
	v_mul_f32_e64 v11, 0x3fb8aa3b, |v8|
	v_cmp_ngt_f32_e64 vcc_lo, 0xc2ce8ed0, |v8|
	v_fmaak_f32 v9, s0, v7, 0xa3c2be86
	v_cmp_nlt_f32_e64 s0, 0x42b17218, |v8|
	v_rndne_f32_e32 v12, v11
	v_fma_f32 v13, 0x3fb8aa3b, |v8|, -v11
	v_fmaak_f32 v10, v7, v9, 0xa24cf950
	v_sub_f32_e32 v11, v11, v12
	v_fma_f32 v13, 0x32a5705f, |v8|, v13
	v_add_f32_e32 v10, 0x25331f1f, v10
	v_add_f32_e32 v11, v11, v13
	v_fma_f32 v9, v7, v10, -v9
	v_add_f32_e32 v9, 0xa69f5554, v9
	v_fma_f32 v10, v7, v9, -v10
	;; [unrolled: 2-line block ×26, first 2 shown]
	v_exp_f32_e32 v9, v11
	v_cvt_i32_f32_e32 v11, v12
	v_add_f32_e32 v7, 0x3e81531c, v7
	v_sub_f32_e32 v7, v7, v10
	v_ldexp_f32 v9, v9, v11
	v_mul_f32_e32 v7, 0.5, v7
	v_cndmask_b32_e32 v10, 0, v9, vcc_lo
	v_cmp_ngt_f32_e32 vcc_lo, 0, v8
	v_mul_f32_e64 v9, |v8|, v7
	v_cndmask_b32_e64 v8, 0x7f800000, v10, s0
                                        ; implicit-def: $vgpr7
	s_and_saveexec_b32 s0, vcc_lo
	s_xor_b32 s0, exec_lo, s0
; %bb.98:
	v_mul_f32_e32 v7, v8, v9
                                        ; implicit-def: $vgpr8
                                        ; implicit-def: $vgpr9
; %bb.99:
	s_andn2_saveexec_b32 s0, s0
; %bb.100:
	v_mul_f32_e64 v7, v9, -v8
; %bb.101:
	s_or_b32 exec_lo, exec_lo, s0
                                        ; implicit-def: $vgpr8
.LBB17_102:
	s_andn2_saveexec_b32 s1, s1
	s_cbranch_execz .LBB17_108
; %bb.103:
	v_and_b32_e32 v7, 0x7fffffff, v8
	s_mov_b32 s0, 0x230aab6e
	v_div_scale_f32 v9, null, v7, v7, 0x42000000
	v_div_scale_f32 v7, vcc_lo, 0x42000000, v7, 0x42000000
	v_rcp_f32_e32 v10, v9
	v_fma_f32 v11, -v9, v10, 1.0
	v_fmac_f32_e32 v10, v11, v10
	v_mul_f32_e32 v11, v7, v10
	v_fma_f32 v12, -v9, v11, v7
	v_fmac_f32_e32 v11, v12, v10
	v_fma_f32 v7, -v9, v11, v7
	v_div_fmas_f32 v7, v7, v10, v11
	v_mul_f32_e64 v11, 0x3fb8aa3b, |v8|
	v_cmp_ngt_f32_e64 vcc_lo, 0xc2ce8ed0, |v8|
	v_div_fixup_f32 v7, v7, |v8|, 0x42000000
	v_rndne_f32_e32 v12, v11
	v_fma_f32 v13, 0x3fb8aa3b, |v8|, -v11
	v_add_f32_e32 v7, -2.0, v7
	v_sub_f32_e32 v11, v11, v12
	v_fma_f32 v13, 0x32a5705f, |v8|, v13
	v_cvt_i32_f32_e32 v12, v12
	v_fmaak_f32 v9, s0, v7, 0x22a2dc57
	v_cmp_nlt_f32_e64 s0, 0x42b17218, |v8|
	v_add_f32_e32 v11, v11, v13
	v_fmaak_f32 v10, v7, v9, 0xa30aab6e
	v_exp_f32_e32 v11, v11
	v_add_f32_e32 v10, 0xa456751e, v10
	v_fma_f32 v9, v7, v10, -v9
	v_ldexp_f32 v11, v11, v12
	v_add_f32_e32 v9, 0xa4140365, v9
	v_fma_f32 v10, v7, v9, -v10
	v_add_f32_e32 v10, 0x25aac8b0, v10
	v_fma_f32 v9, v7, v10, -v9
	;; [unrolled: 2-line block ×21, first 2 shown]
	v_cndmask_b32_e32 v9, 0, v11, vcc_lo
	v_mul_f32_e64 v11, 0x4f800000, |v8|
	v_add_f32_e32 v7, 0x3f4750c6, v7
	v_cndmask_b32_e64 v9, 0x7f800000, v9, s0
	s_mov_b32 s0, exec_lo
	v_sub_f32_e32 v10, v7, v10
                                        ; implicit-def: $vgpr7
	v_cmpx_ngt_f32_e32 0, v8
	s_xor_b32 s2, exec_lo, s0
	s_cbranch_execz .LBB17_105
; %bb.104:
	v_cmp_gt_f32_e64 vcc_lo, 0xf800000, |v8|
	v_mul_f32_e32 v10, 0.5, v10
	v_cndmask_b32_e64 v7, |v8|, v11, vcc_lo
	v_mul_f32_e32 v9, v9, v10
	v_sqrt_f32_e32 v8, v7
	v_add_nc_u32_e32 v11, -1, v8
	v_add_nc_u32_e32 v12, 1, v8
	v_fma_f32 v13, -v11, v8, v7
	v_fma_f32 v14, -v12, v8, v7
	v_cmp_ge_f32_e64 s0, 0, v13
	v_cndmask_b32_e64 v8, v8, v11, s0
	v_cmp_lt_f32_e64 s0, 0, v14
	v_cndmask_b32_e64 v8, v8, v12, s0
	v_mul_f32_e32 v11, 0x37800000, v8
	v_cndmask_b32_e32 v8, v8, v11, vcc_lo
	v_cmp_class_f32_e64 vcc_lo, v7, 0x260
	v_cndmask_b32_e32 v7, v8, v7, vcc_lo
	v_div_scale_f32 v8, null, v7, v7, v9
	v_rcp_f32_e32 v10, v8
	v_fma_f32 v11, -v8, v10, 1.0
	v_fmac_f32_e32 v10, v11, v10
	v_div_scale_f32 v11, vcc_lo, v9, v7, v9
	v_mul_f32_e32 v12, v11, v10
	v_fma_f32 v13, -v8, v12, v11
	v_fmac_f32_e32 v12, v13, v10
	v_fma_f32 v8, -v8, v12, v11
                                        ; implicit-def: $vgpr11
	v_div_fmas_f32 v8, v8, v10, v12
                                        ; implicit-def: $vgpr10
	v_div_fixup_f32 v7, v8, v7, v9
                                        ; implicit-def: $vgpr8
                                        ; implicit-def: $vgpr9
.LBB17_105:
	s_andn2_saveexec_b32 s2, s2
	s_cbranch_execz .LBB17_107
; %bb.106:
	v_cmp_gt_f32_e64 vcc_lo, 0xf800000, |v8|
	v_mul_f32_e32 v10, -0.5, v10
	v_cndmask_b32_e64 v7, |v8|, v11, vcc_lo
	v_mul_f32_e32 v9, v9, v10
	v_sqrt_f32_e32 v8, v7
	v_add_nc_u32_e32 v11, -1, v8
	v_add_nc_u32_e32 v12, 1, v8
	v_fma_f32 v13, -v11, v8, v7
	v_fma_f32 v14, -v12, v8, v7
	v_cmp_ge_f32_e64 s0, 0, v13
	v_cndmask_b32_e64 v8, v8, v11, s0
	v_cmp_lt_f32_e64 s0, 0, v14
	v_cndmask_b32_e64 v8, v8, v12, s0
	v_mul_f32_e32 v11, 0x37800000, v8
	v_cndmask_b32_e32 v8, v8, v11, vcc_lo
	v_cmp_class_f32_e64 vcc_lo, v7, 0x260
	v_cndmask_b32_e32 v7, v8, v7, vcc_lo
	v_div_scale_f32 v8, null, v7, v7, v9
	v_rcp_f32_e32 v10, v8
	v_fma_f32 v11, -v8, v10, 1.0
	v_fmac_f32_e32 v10, v11, v10
	v_div_scale_f32 v11, vcc_lo, v9, v7, v9
	v_mul_f32_e32 v12, v11, v10
	v_fma_f32 v13, -v8, v12, v11
	v_fmac_f32_e32 v12, v13, v10
	v_fma_f32 v8, -v8, v12, v11
	v_div_fmas_f32 v8, v8, v10, v12
	v_div_fixup_f32 v7, v8, v7, v9
.LBB17_107:
	s_or_b32 exec_lo, exec_lo, s2
.LBB17_108:
	s_or_b32 exec_lo, exec_lo, s1
	global_load_dword v5, v5, s[6:7]
	s_mov_b32 s1, exec_lo
                                        ; implicit-def: $vgpr8
	s_waitcnt vmcnt(0)
	v_cmpx_ge_f32_e64 0x41000000, |v5|
	s_xor_b32 s1, exec_lo, s1
	s_cbranch_execz .LBB17_114
; %bb.109:
	v_fma_f32 v8, |v5|, 0.5, -2.0
	s_mov_b32 s0, 0x224cf950
	v_mul_f32_e64 v11, 0x3fb8aa3b, |v5|
	v_cmp_ngt_f32_e64 vcc_lo, 0xc2ce8ed0, |v5|
	v_fmaak_f32 v9, s0, v8, 0xa3c2be86
	v_cmp_nlt_f32_e64 s0, 0x42b17218, |v5|
	v_rndne_f32_e32 v12, v11
	v_fma_f32 v13, 0x3fb8aa3b, |v5|, -v11
	v_fmaak_f32 v10, v8, v9, 0xa24cf950
	v_sub_f32_e32 v11, v11, v12
	v_fma_f32 v13, 0x32a5705f, |v5|, v13
	v_add_f32_e32 v10, 0x25331f1f, v10
	v_add_f32_e32 v11, v11, v13
	v_fma_f32 v9, v8, v10, -v9
	v_add_f32_e32 v9, 0xa69f5554, v9
	v_fma_f32 v10, v8, v9, -v10
	;; [unrolled: 2-line block ×26, first 2 shown]
	v_exp_f32_e32 v9, v11
	v_cvt_i32_f32_e32 v11, v12
	v_add_f32_e32 v8, 0x3e81531c, v8
	v_sub_f32_e32 v8, v8, v10
	v_ldexp_f32 v9, v9, v11
	v_mul_f32_e32 v8, 0.5, v8
	v_cndmask_b32_e32 v10, 0, v9, vcc_lo
	v_cmp_ngt_f32_e32 vcc_lo, 0, v5
	v_mul_f32_e64 v9, |v5|, v8
	v_cndmask_b32_e64 v5, 0x7f800000, v10, s0
                                        ; implicit-def: $vgpr8
	s_and_saveexec_b32 s0, vcc_lo
	s_xor_b32 s0, exec_lo, s0
; %bb.110:
	v_mul_f32_e32 v8, v5, v9
                                        ; implicit-def: $vgpr5
                                        ; implicit-def: $vgpr9
; %bb.111:
	s_andn2_saveexec_b32 s0, s0
; %bb.112:
	v_mul_f32_e64 v8, v9, -v5
; %bb.113:
	s_or_b32 exec_lo, exec_lo, s0
                                        ; implicit-def: $vgpr5
.LBB17_114:
	s_andn2_saveexec_b32 s1, s1
	s_cbranch_execz .LBB17_120
; %bb.115:
	v_and_b32_e32 v8, 0x7fffffff, v5
	s_mov_b32 s0, 0x230aab6e
	v_div_scale_f32 v9, null, v8, v8, 0x42000000
	v_div_scale_f32 v8, vcc_lo, 0x42000000, v8, 0x42000000
	v_rcp_f32_e32 v10, v9
	v_fma_f32 v11, -v9, v10, 1.0
	v_fmac_f32_e32 v10, v11, v10
	v_mul_f32_e32 v11, v8, v10
	v_fma_f32 v12, -v9, v11, v8
	v_fmac_f32_e32 v11, v12, v10
	v_fma_f32 v8, -v9, v11, v8
	v_div_fmas_f32 v8, v8, v10, v11
	v_mul_f32_e64 v11, 0x3fb8aa3b, |v5|
	v_cmp_ngt_f32_e64 vcc_lo, 0xc2ce8ed0, |v5|
	v_div_fixup_f32 v8, v8, |v5|, 0x42000000
	v_rndne_f32_e32 v12, v11
	v_fma_f32 v13, 0x3fb8aa3b, |v5|, -v11
	v_add_f32_e32 v8, -2.0, v8
	v_sub_f32_e32 v11, v11, v12
	v_fma_f32 v13, 0x32a5705f, |v5|, v13
	v_cvt_i32_f32_e32 v12, v12
	v_fmaak_f32 v9, s0, v8, 0x22a2dc57
	v_cmp_nlt_f32_e64 s0, 0x42b17218, |v5|
	v_add_f32_e32 v11, v11, v13
	v_fmaak_f32 v10, v8, v9, 0xa30aab6e
	v_exp_f32_e32 v11, v11
	v_add_f32_e32 v10, 0xa456751e, v10
	v_fma_f32 v9, v8, v10, -v9
	v_ldexp_f32 v11, v11, v12
	v_add_f32_e32 v9, 0xa4140365, v9
	v_fma_f32 v10, v8, v9, -v10
	v_add_f32_e32 v10, 0x25aac8b0, v10
	v_fma_f32 v9, v8, v10, -v9
	;; [unrolled: 2-line block ×21, first 2 shown]
	v_cndmask_b32_e32 v9, 0, v11, vcc_lo
	v_mul_f32_e64 v11, 0x4f800000, |v5|
	v_add_f32_e32 v8, 0x3f4750c6, v8
	v_cndmask_b32_e64 v9, 0x7f800000, v9, s0
	s_mov_b32 s0, exec_lo
	v_sub_f32_e32 v10, v8, v10
                                        ; implicit-def: $vgpr8
	v_cmpx_ngt_f32_e32 0, v5
	s_xor_b32 s2, exec_lo, s0
	s_cbranch_execz .LBB17_117
; %bb.116:
	v_cmp_gt_f32_e64 vcc_lo, 0xf800000, |v5|
	v_mul_f32_e32 v10, 0.5, v10
	v_cndmask_b32_e64 v5, |v5|, v11, vcc_lo
	v_mul_f32_e32 v9, v9, v10
	v_sqrt_f32_e32 v8, v5
	v_add_nc_u32_e32 v11, -1, v8
	v_add_nc_u32_e32 v12, 1, v8
	v_fma_f32 v13, -v11, v8, v5
	v_fma_f32 v14, -v12, v8, v5
	v_cmp_ge_f32_e64 s0, 0, v13
	v_cndmask_b32_e64 v8, v8, v11, s0
	v_cmp_lt_f32_e64 s0, 0, v14
	v_cndmask_b32_e64 v8, v8, v12, s0
	v_mul_f32_e32 v11, 0x37800000, v8
	v_cndmask_b32_e32 v8, v8, v11, vcc_lo
	v_cmp_class_f32_e64 vcc_lo, v5, 0x260
	v_cndmask_b32_e32 v5, v8, v5, vcc_lo
	v_div_scale_f32 v8, null, v5, v5, v9
	v_rcp_f32_e32 v10, v8
	v_fma_f32 v11, -v8, v10, 1.0
	v_fmac_f32_e32 v10, v11, v10
	v_div_scale_f32 v11, vcc_lo, v9, v5, v9
	v_mul_f32_e32 v12, v11, v10
	v_fma_f32 v13, -v8, v12, v11
	v_fmac_f32_e32 v12, v13, v10
	v_fma_f32 v8, -v8, v12, v11
                                        ; implicit-def: $vgpr11
	v_div_fmas_f32 v8, v8, v10, v12
                                        ; implicit-def: $vgpr10
	v_div_fixup_f32 v8, v8, v5, v9
                                        ; implicit-def: $vgpr5
                                        ; implicit-def: $vgpr9
.LBB17_117:
	s_andn2_saveexec_b32 s2, s2
	s_cbranch_execz .LBB17_119
; %bb.118:
	v_cmp_gt_f32_e64 vcc_lo, 0xf800000, |v5|
	v_mul_f32_e32 v10, -0.5, v10
	v_cndmask_b32_e64 v5, |v5|, v11, vcc_lo
	v_mul_f32_e32 v9, v9, v10
	v_sqrt_f32_e32 v8, v5
	v_add_nc_u32_e32 v11, -1, v8
	v_add_nc_u32_e32 v12, 1, v8
	v_fma_f32 v13, -v11, v8, v5
	v_fma_f32 v14, -v12, v8, v5
	v_cmp_ge_f32_e64 s0, 0, v13
	v_cndmask_b32_e64 v8, v8, v11, s0
	v_cmp_lt_f32_e64 s0, 0, v14
	v_cndmask_b32_e64 v8, v8, v12, s0
	v_mul_f32_e32 v11, 0x37800000, v8
	v_cndmask_b32_e32 v8, v8, v11, vcc_lo
	v_cmp_class_f32_e64 vcc_lo, v5, 0x260
	v_cndmask_b32_e32 v5, v8, v5, vcc_lo
	v_div_scale_f32 v8, null, v5, v5, v9
	v_rcp_f32_e32 v10, v8
	v_fma_f32 v11, -v8, v10, 1.0
	v_fmac_f32_e32 v10, v11, v10
	v_div_scale_f32 v11, vcc_lo, v9, v5, v9
	v_mul_f32_e32 v12, v11, v10
	v_fma_f32 v13, -v8, v12, v11
	v_fmac_f32_e32 v12, v13, v10
	v_fma_f32 v8, -v8, v12, v11
	v_div_fmas_f32 v8, v8, v10, v12
	v_div_fixup_f32 v8, v8, v5, v9
.LBB17_119:
	s_or_b32 exec_lo, exec_lo, s2
.LBB17_120:
	s_or_b32 exec_lo, exec_lo, s1
	global_store_dword v0, v4, s[4:5]
	global_store_dword v1, v6, s[4:5]
	global_store_dword v2, v7, s[4:5]
	global_store_dword v3, v8, s[4:5]
	s_endpgm
.LBB17_121:
	v_mov_b32_e32 v0, 0
	v_mov_b32_e32 v2, 0
	s_branch .LBB17_127
.LBB17_122:
	v_mov_b32_e32 v0, 0
	v_mov_b32_e32 v2, 0
	s_branch .LBB17_155
.LBB17_123:
	v_mov_b32_e32 v0, 0
	v_mov_b32_e32 v2, 0
	;; [unrolled: 1-line block ×3, first 2 shown]
	s_mov_b32 s31, 0
.LBB17_124:
	s_and_b32 s33, s33, 3
	s_cmp_eq_u32 s33, 0
	s_cbranch_scc1 .LBB17_127
; %bb.125:
	s_lshl_b32 s0, s31, 3
	s_mul_i32 s20, s31, 12
	s_add_u32 s0, s2, s0
	s_addc_u32 s1, s3, 0
	s_add_u32 s0, s0, 0xc4
	s_addc_u32 s1, s1, 0
	;; [unrolled: 2-line block ×3, first 2 shown]
	.p2align	6
.LBB17_126:                             ; =>This Inner Loop Header: Depth=1
	s_clause 0x1
	s_load_dwordx2 s[34:35], s[20:21], 0x4
	s_load_dword s31, s[20:21], 0xc
	s_load_dwordx2 s[36:37], s[0:1], 0x0
	s_add_u32 s20, s20, 12
	s_addc_u32 s21, s21, 0
	s_add_u32 s0, s0, 8
	s_addc_u32 s1, s1, 0
	s_add_i32 s33, s33, -1
	s_cmp_lg_u32 s33, 0
	s_waitcnt lgkmcnt(0)
	v_mul_hi_u32 v3, s35, v1
	v_add_nc_u32_e32 v3, v1, v3
	v_lshrrev_b32_e32 v5, s31, v3
	v_mul_lo_u32 v3, v5, s34
	v_sub_nc_u32_e32 v3, v1, v3
	v_mad_u64_u32 v[0:1], null, v3, s36, v[0:1]
	v_mad_u64_u32 v[2:3], null, v3, s37, v[2:3]
	v_mov_b32_e32 v1, v5
	s_cbranch_scc1 .LBB17_126
.LBB17_127:
	s_cbranch_execnz .LBB17_130
.LBB17_128:
	s_waitcnt lgkmcnt(0)
	v_mul_hi_u32 v0, s13, v4
	s_andn2_b32 vcc_lo, exec_lo, s26
	v_add_nc_u32_e32 v0, v4, v0
	v_lshrrev_b32_e32 v1, s14, v0
	v_mul_lo_u32 v0, v1, s12
	v_sub_nc_u32_e32 v2, v4, v0
	v_mul_lo_u32 v0, v2, s8
	v_mul_lo_u32 v2, v2, s9
	s_cbranch_vccnz .LBB17_130
; %bb.129:
	v_mul_hi_u32 v3, s16, v1
	v_add_nc_u32_e32 v3, v1, v3
	v_lshrrev_b32_e32 v3, s17, v3
	v_mul_lo_u32 v3, v3, s15
	v_sub_nc_u32_e32 v3, v1, v3
	v_mad_u64_u32 v[0:1], null, v3, s10, v[0:1]
	v_mad_u64_u32 v[2:3], null, v3, s11, v[2:3]
.LBB17_130:
	s_waitcnt lgkmcnt(0)
	global_load_dword v1, v2, s[6:7]
	s_mov_b32 s1, exec_lo
                                        ; implicit-def: $vgpr3
	s_waitcnt vmcnt(0)
	v_mul_f32_e64 v2, 0x3fb8aa3b, |v1|
	v_cmpx_ge_f32_e64 0x41000000, |v1|
	s_xor_b32 s1, exec_lo, s1
	s_cbranch_execz .LBB17_136
; %bb.131:
	v_fma_f32 v3, |v1|, 0.5, -2.0
	s_mov_b32 s0, 0x224cf950
	v_rndne_f32_e32 v7, v2
	v_fma_f32 v8, 0x3fb8aa3b, |v1|, -v2
	v_cmp_ngt_f32_e64 vcc_lo, 0xc2ce8ed0, |v1|
	v_fmaak_f32 v5, s0, v3, 0xa3c2be86
	v_cmp_nlt_f32_e64 s0, 0x42b17218, |v1|
	v_sub_f32_e32 v2, v2, v7
	v_fma_f32 v8, 0x32a5705f, |v1|, v8
	v_fmaak_f32 v6, v3, v5, 0xa24cf950
	v_add_f32_e32 v2, v2, v8
	v_add_f32_e32 v6, 0x25331f1f, v6
	v_exp_f32_e32 v2, v2
	v_fma_f32 v5, v3, v6, -v5
	v_add_f32_e32 v5, 0xa69f5554, v5
	v_fma_f32 v6, v3, v5, -v6
	v_add_f32_e32 v6, 0x2808ebf8, v6
	;; [unrolled: 2-line block ×25, first 2 shown]
	v_fma_f32 v3, v3, v5, -v6
	v_cvt_i32_f32_e32 v5, v7
	v_add_f32_e32 v3, 0x3e81531c, v3
	v_ldexp_f32 v2, v2, v5
	v_sub_f32_e32 v3, v3, v6
	v_cndmask_b32_e32 v5, 0, v2, vcc_lo
	v_cmp_ngt_f32_e32 vcc_lo, 0, v1
	v_mul_f32_e32 v3, 0.5, v3
	v_mul_f32_e64 v2, |v1|, v3
	v_cndmask_b32_e64 v1, 0x7f800000, v5, s0
                                        ; implicit-def: $vgpr3
	s_and_saveexec_b32 s0, vcc_lo
	s_xor_b32 s0, exec_lo, s0
; %bb.132:
	v_mul_f32_e32 v3, v1, v2
                                        ; implicit-def: $vgpr1
                                        ; implicit-def: $vgpr2
; %bb.133:
	s_andn2_saveexec_b32 s0, s0
; %bb.134:
	v_mul_f32_e64 v3, v2, -v1
; %bb.135:
	s_or_b32 exec_lo, exec_lo, s0
                                        ; implicit-def: $vgpr1
                                        ; implicit-def: $vgpr2
.LBB17_136:
	s_andn2_saveexec_b32 s1, s1
	s_cbranch_execz .LBB17_142
; %bb.137:
	v_and_b32_e32 v3, 0x7fffffff, v1
	s_mov_b32 s0, 0x230aab6e
	v_div_scale_f32 v5, null, v3, v3, 0x42000000
	v_div_scale_f32 v3, vcc_lo, 0x42000000, v3, 0x42000000
	v_rcp_f32_e32 v6, v5
	v_fma_f32 v7, -v5, v6, 1.0
	v_fmac_f32_e32 v6, v7, v6
	v_mul_f32_e32 v7, v3, v6
	v_fma_f32 v8, -v5, v7, v3
	v_fmac_f32_e32 v7, v8, v6
	v_fma_f32 v8, 0x3fb8aa3b, |v1|, -v2
	v_fma_f32 v3, -v5, v7, v3
	v_fma_f32 v8, 0x32a5705f, |v1|, v8
	v_div_fmas_f32 v3, v3, v6, v7
	v_rndne_f32_e32 v7, v2
	v_cmp_ngt_f32_e64 vcc_lo, 0xc2ce8ed0, |v1|
	v_div_fixup_f32 v3, v3, |v1|, 0x42000000
	v_sub_f32_e32 v2, v2, v7
	v_cvt_i32_f32_e32 v7, v7
	v_add_f32_e32 v3, -2.0, v3
	v_add_f32_e32 v2, v2, v8
	v_fmaak_f32 v5, s0, v3, 0x22a2dc57
	v_exp_f32_e32 v2, v2
	v_cmp_nlt_f32_e64 s0, 0x42b17218, |v1|
	v_fmaak_f32 v6, v3, v5, 0xa30aab6e
	v_add_f32_e32 v6, 0xa456751e, v6
	v_ldexp_f32 v2, v2, v7
	v_fma_f32 v5, v3, v6, -v5
	v_cndmask_b32_e32 v2, 0, v2, vcc_lo
	v_add_f32_e32 v5, 0xa4140365, v5
	v_cndmask_b32_e64 v2, 0x7f800000, v2, s0
	s_mov_b32 s0, exec_lo
	v_fma_f32 v6, v3, v5, -v6
	v_add_f32_e32 v6, 0x25aac8b0, v6
	v_fma_f32 v5, v3, v6, -v5
	v_add_f32_e32 v5, 0x25beb473, v5
	;; [unrolled: 2-line block ×21, first 2 shown]
	v_sub_f32_e32 v5, v3, v6
                                        ; implicit-def: $vgpr3
	v_cmpx_ngt_f32_e32 0, v1
	s_xor_b32 s20, exec_lo, s0
	s_cbranch_execz .LBB17_139
; %bb.138:
	v_mul_f32_e64 v3, 0x4f800000, |v1|
	v_cmp_gt_f32_e64 vcc_lo, 0xf800000, |v1|
	v_mul_f32_e32 v5, 0.5, v5
	v_cndmask_b32_e64 v1, |v1|, v3, vcc_lo
	v_mul_f32_e32 v2, v2, v5
	v_sqrt_f32_e32 v3, v1
	v_add_nc_u32_e32 v6, -1, v3
	v_add_nc_u32_e32 v7, 1, v3
	v_fma_f32 v8, -v6, v3, v1
	v_fma_f32 v9, -v7, v3, v1
	v_cmp_ge_f32_e64 s0, 0, v8
	v_cndmask_b32_e64 v3, v3, v6, s0
	v_cmp_lt_f32_e64 s0, 0, v9
	v_cndmask_b32_e64 v3, v3, v7, s0
	v_mul_f32_e32 v6, 0x37800000, v3
	v_cndmask_b32_e32 v3, v3, v6, vcc_lo
	v_cmp_class_f32_e64 vcc_lo, v1, 0x260
	v_cndmask_b32_e32 v1, v3, v1, vcc_lo
	v_div_scale_f32 v3, null, v1, v1, v2
	v_rcp_f32_e32 v5, v3
	v_fma_f32 v6, -v3, v5, 1.0
	v_fmac_f32_e32 v5, v6, v5
	v_div_scale_f32 v6, vcc_lo, v2, v1, v2
	v_mul_f32_e32 v7, v6, v5
	v_fma_f32 v8, -v3, v7, v6
	v_fmac_f32_e32 v7, v8, v5
	v_fma_f32 v3, -v3, v7, v6
	v_div_fmas_f32 v3, v3, v5, v7
                                        ; implicit-def: $vgpr5
	v_div_fixup_f32 v3, v3, v1, v2
                                        ; implicit-def: $vgpr1
                                        ; implicit-def: $vgpr2
.LBB17_139:
	s_andn2_saveexec_b32 s20, s20
	s_cbranch_execz .LBB17_141
; %bb.140:
	v_mul_f32_e64 v3, 0x4f800000, |v1|
	v_cmp_gt_f32_e64 vcc_lo, 0xf800000, |v1|
	v_mul_f32_e32 v5, -0.5, v5
	v_cndmask_b32_e64 v1, |v1|, v3, vcc_lo
	v_mul_f32_e32 v2, v2, v5
	v_sqrt_f32_e32 v3, v1
	v_add_nc_u32_e32 v6, -1, v3
	v_add_nc_u32_e32 v7, 1, v3
	v_fma_f32 v8, -v6, v3, v1
	v_fma_f32 v9, -v7, v3, v1
	v_cmp_ge_f32_e64 s0, 0, v8
	v_cndmask_b32_e64 v3, v3, v6, s0
	v_cmp_lt_f32_e64 s0, 0, v9
	v_cndmask_b32_e64 v3, v3, v7, s0
	v_mul_f32_e32 v6, 0x37800000, v3
	v_cndmask_b32_e32 v3, v3, v6, vcc_lo
	v_cmp_class_f32_e64 vcc_lo, v1, 0x260
	v_cndmask_b32_e32 v1, v3, v1, vcc_lo
	v_div_scale_f32 v3, null, v1, v1, v2
	v_rcp_f32_e32 v5, v3
	v_fma_f32 v6, -v3, v5, 1.0
	v_fmac_f32_e32 v5, v6, v5
	v_div_scale_f32 v6, vcc_lo, v2, v1, v2
	v_mul_f32_e32 v7, v6, v5
	v_fma_f32 v8, -v3, v7, v6
	v_fmac_f32_e32 v7, v8, v5
	v_fma_f32 v3, -v3, v7, v6
	v_div_fmas_f32 v3, v3, v5, v7
	v_div_fixup_f32 v3, v3, v1, v2
.LBB17_141:
	s_or_b32 exec_lo, exec_lo, s20
.LBB17_142:
	s_or_b32 exec_lo, exec_lo, s1
	v_add_nc_u32_e32 v4, 0x80, v4
	global_store_dword v0, v3, s[4:5]
	s_or_b32 exec_lo, exec_lo, s30
	s_mov_b32 s30, exec_lo
	v_cmpx_gt_i32_e64 s27, v4
	s_cbranch_execnz .LBB17_15
.LBB17_143:
	s_or_b32 exec_lo, exec_lo, s30
	s_mov_b32 s30, exec_lo
	v_cmpx_gt_i32_e64 s27, v4
	s_cbranch_execz .LBB17_171
.LBB17_144:
	s_andn2_b32 vcc_lo, exec_lo, s24
	s_cbranch_vccnz .LBB17_149
; %bb.145:
	s_andn2_b32 vcc_lo, exec_lo, s29
	s_cbranch_vccnz .LBB17_150
; %bb.146:
	s_add_i32 s33, s28, 1
	s_cmp_eq_u32 s23, 2
	s_cbranch_scc1 .LBB17_174
; %bb.147:
	v_mov_b32_e32 v2, 0
	v_mov_b32_e32 v0, 0
	;; [unrolled: 1-line block ×3, first 2 shown]
	s_and_b32 s31, s33, 28
	s_mov_b32 s34, 0
	s_mov_b64 s[0:1], s[2:3]
	s_mov_b64 s[20:21], s[18:19]
.LBB17_148:                             ; =>This Inner Loop Header: Depth=1
	s_clause 0x1
	s_load_dwordx8 s[36:43], s[0:1], 0x4
	s_load_dwordx4 s[52:55], s[0:1], 0x24
	s_load_dwordx8 s[44:51], s[20:21], 0x0
	s_add_u32 s0, s0, 48
	s_addc_u32 s1, s1, 0
	s_add_i32 s34, s34, 4
	s_add_u32 s20, s20, 32
	s_addc_u32 s21, s21, 0
	s_cmp_eq_u32 s31, s34
	s_waitcnt lgkmcnt(0)
	v_mul_hi_u32 v3, s37, v1
	v_add_nc_u32_e32 v3, v1, v3
	v_lshrrev_b32_e32 v3, s38, v3
	v_mul_hi_u32 v5, s40, v3
	v_mul_lo_u32 v7, v3, s36
	v_add_nc_u32_e32 v5, v3, v5
	v_sub_nc_u32_e32 v1, v1, v7
	v_lshrrev_b32_e32 v5, s41, v5
	v_mul_lo_u32 v7, v1, s44
	v_mul_lo_u32 v9, v1, s45
	v_mul_hi_u32 v6, s43, v5
	v_add_nc_u32_e32 v6, v5, v6
	v_lshrrev_b32_e32 v6, s52, v6
	v_mul_hi_u32 v8, s54, v6
	v_mul_lo_u32 v10, v6, s42
	v_add_nc_u32_e32 v1, v6, v8
	v_mul_lo_u32 v8, v5, s39
	v_sub_nc_u32_e32 v5, v5, v10
	v_lshrrev_b32_e32 v1, s55, v1
	v_mul_lo_u32 v10, v5, s48
	v_mul_lo_u32 v5, v5, s49
	v_sub_nc_u32_e32 v3, v3, v8
	v_mul_lo_u32 v11, v1, s53
	v_mul_lo_u32 v8, v3, s46
	;; [unrolled: 1-line block ×3, first 2 shown]
	v_sub_nc_u32_e32 v6, v6, v11
	v_add3_u32 v0, v7, v0, v8
	v_mul_lo_u32 v11, v6, s50
	v_mul_lo_u32 v6, v6, s51
	v_add3_u32 v2, v9, v2, v3
	v_add3_u32 v0, v10, v0, v11
	;; [unrolled: 1-line block ×3, first 2 shown]
	s_cbranch_scc0 .LBB17_148
	s_branch .LBB17_175
.LBB17_149:
                                        ; implicit-def: $vgpr0
                                        ; implicit-def: $vgpr2
	s_branch .LBB17_179
.LBB17_150:
	v_mov_b32_e32 v0, 0
	v_mov_b32_e32 v2, 0
	s_branch .LBB17_178
.LBB17_151:
	v_mov_b32_e32 v0, 0
	v_mov_b32_e32 v2, 0
	;; [unrolled: 1-line block ×3, first 2 shown]
	s_mov_b32 s31, 0
.LBB17_152:
	s_and_b32 s33, s33, 3
	s_cmp_eq_u32 s33, 0
	s_cbranch_scc1 .LBB17_155
; %bb.153:
	s_lshl_b32 s0, s31, 3
	s_mul_i32 s20, s31, 12
	s_add_u32 s0, s2, s0
	s_addc_u32 s1, s3, 0
	s_add_u32 s0, s0, 0xc4
	s_addc_u32 s1, s1, 0
	s_add_u32 s20, s2, s20
	s_addc_u32 s21, s3, 0
	.p2align	6
.LBB17_154:                             ; =>This Inner Loop Header: Depth=1
	s_clause 0x1
	s_load_dwordx2 s[34:35], s[20:21], 0x4
	s_load_dword s31, s[20:21], 0xc
	s_load_dwordx2 s[36:37], s[0:1], 0x0
	s_add_u32 s20, s20, 12
	s_addc_u32 s21, s21, 0
	s_add_u32 s0, s0, 8
	s_addc_u32 s1, s1, 0
	s_add_i32 s33, s33, -1
	s_cmp_lg_u32 s33, 0
	s_waitcnt lgkmcnt(0)
	v_mul_hi_u32 v3, s35, v1
	v_add_nc_u32_e32 v3, v1, v3
	v_lshrrev_b32_e32 v5, s31, v3
	v_mul_lo_u32 v3, v5, s34
	v_sub_nc_u32_e32 v3, v1, v3
	v_mad_u64_u32 v[0:1], null, v3, s36, v[0:1]
	v_mad_u64_u32 v[2:3], null, v3, s37, v[2:3]
	v_mov_b32_e32 v1, v5
	s_cbranch_scc1 .LBB17_154
.LBB17_155:
	s_cbranch_execnz .LBB17_158
.LBB17_156:
	s_waitcnt lgkmcnt(0)
	v_mul_hi_u32 v0, s13, v4
	s_andn2_b32 vcc_lo, exec_lo, s26
	v_add_nc_u32_e32 v0, v4, v0
	v_lshrrev_b32_e32 v1, s14, v0
	v_mul_lo_u32 v0, v1, s12
	v_sub_nc_u32_e32 v2, v4, v0
	v_mul_lo_u32 v0, v2, s8
	v_mul_lo_u32 v2, v2, s9
	s_cbranch_vccnz .LBB17_158
; %bb.157:
	v_mul_hi_u32 v3, s16, v1
	v_add_nc_u32_e32 v3, v1, v3
	v_lshrrev_b32_e32 v3, s17, v3
	v_mul_lo_u32 v3, v3, s15
	v_sub_nc_u32_e32 v3, v1, v3
	v_mad_u64_u32 v[0:1], null, v3, s10, v[0:1]
	v_mad_u64_u32 v[2:3], null, v3, s11, v[2:3]
.LBB17_158:
	s_waitcnt lgkmcnt(0)
	global_load_dword v1, v2, s[6:7]
	s_mov_b32 s1, exec_lo
                                        ; implicit-def: $vgpr3
	s_waitcnt vmcnt(0)
	v_mul_f32_e64 v2, 0x3fb8aa3b, |v1|
	v_cmpx_ge_f32_e64 0x41000000, |v1|
	s_xor_b32 s1, exec_lo, s1
	s_cbranch_execz .LBB17_164
; %bb.159:
	v_fma_f32 v3, |v1|, 0.5, -2.0
	s_mov_b32 s0, 0x224cf950
	v_rndne_f32_e32 v7, v2
	v_fma_f32 v8, 0x3fb8aa3b, |v1|, -v2
	v_cmp_ngt_f32_e64 vcc_lo, 0xc2ce8ed0, |v1|
	v_fmaak_f32 v5, s0, v3, 0xa3c2be86
	v_cmp_nlt_f32_e64 s0, 0x42b17218, |v1|
	v_sub_f32_e32 v2, v2, v7
	v_fma_f32 v8, 0x32a5705f, |v1|, v8
	v_fmaak_f32 v6, v3, v5, 0xa24cf950
	v_add_f32_e32 v2, v2, v8
	v_add_f32_e32 v6, 0x25331f1f, v6
	v_exp_f32_e32 v2, v2
	v_fma_f32 v5, v3, v6, -v5
	v_add_f32_e32 v5, 0xa69f5554, v5
	v_fma_f32 v6, v3, v5, -v6
	v_add_f32_e32 v6, 0x2808ebf8, v6
	;; [unrolled: 2-line block ×25, first 2 shown]
	v_fma_f32 v3, v3, v5, -v6
	v_cvt_i32_f32_e32 v5, v7
	v_add_f32_e32 v3, 0x3e81531c, v3
	v_ldexp_f32 v2, v2, v5
	v_sub_f32_e32 v3, v3, v6
	v_cndmask_b32_e32 v5, 0, v2, vcc_lo
	v_cmp_ngt_f32_e32 vcc_lo, 0, v1
	v_mul_f32_e32 v3, 0.5, v3
	v_mul_f32_e64 v2, |v1|, v3
	v_cndmask_b32_e64 v1, 0x7f800000, v5, s0
                                        ; implicit-def: $vgpr3
	s_and_saveexec_b32 s0, vcc_lo
	s_xor_b32 s0, exec_lo, s0
; %bb.160:
	v_mul_f32_e32 v3, v1, v2
                                        ; implicit-def: $vgpr1
                                        ; implicit-def: $vgpr2
; %bb.161:
	s_andn2_saveexec_b32 s0, s0
; %bb.162:
	v_mul_f32_e64 v3, v2, -v1
; %bb.163:
	s_or_b32 exec_lo, exec_lo, s0
                                        ; implicit-def: $vgpr1
                                        ; implicit-def: $vgpr2
.LBB17_164:
	s_andn2_saveexec_b32 s1, s1
	s_cbranch_execz .LBB17_170
; %bb.165:
	v_and_b32_e32 v3, 0x7fffffff, v1
	s_mov_b32 s0, 0x230aab6e
	v_div_scale_f32 v5, null, v3, v3, 0x42000000
	v_div_scale_f32 v3, vcc_lo, 0x42000000, v3, 0x42000000
	v_rcp_f32_e32 v6, v5
	v_fma_f32 v7, -v5, v6, 1.0
	v_fmac_f32_e32 v6, v7, v6
	v_mul_f32_e32 v7, v3, v6
	v_fma_f32 v8, -v5, v7, v3
	v_fmac_f32_e32 v7, v8, v6
	v_fma_f32 v8, 0x3fb8aa3b, |v1|, -v2
	v_fma_f32 v3, -v5, v7, v3
	v_fma_f32 v8, 0x32a5705f, |v1|, v8
	v_div_fmas_f32 v3, v3, v6, v7
	v_rndne_f32_e32 v7, v2
	v_cmp_ngt_f32_e64 vcc_lo, 0xc2ce8ed0, |v1|
	v_div_fixup_f32 v3, v3, |v1|, 0x42000000
	v_sub_f32_e32 v2, v2, v7
	v_cvt_i32_f32_e32 v7, v7
	v_add_f32_e32 v3, -2.0, v3
	v_add_f32_e32 v2, v2, v8
	v_fmaak_f32 v5, s0, v3, 0x22a2dc57
	v_exp_f32_e32 v2, v2
	v_cmp_nlt_f32_e64 s0, 0x42b17218, |v1|
	v_fmaak_f32 v6, v3, v5, 0xa30aab6e
	v_add_f32_e32 v6, 0xa456751e, v6
	v_ldexp_f32 v2, v2, v7
	v_fma_f32 v5, v3, v6, -v5
	v_cndmask_b32_e32 v2, 0, v2, vcc_lo
	v_add_f32_e32 v5, 0xa4140365, v5
	v_cndmask_b32_e64 v2, 0x7f800000, v2, s0
	s_mov_b32 s0, exec_lo
	v_fma_f32 v6, v3, v5, -v6
	v_add_f32_e32 v6, 0x25aac8b0, v6
	v_fma_f32 v5, v3, v6, -v5
	v_add_f32_e32 v5, 0x25beb473, v5
	;; [unrolled: 2-line block ×21, first 2 shown]
	v_sub_f32_e32 v5, v3, v6
                                        ; implicit-def: $vgpr3
	v_cmpx_ngt_f32_e32 0, v1
	s_xor_b32 s20, exec_lo, s0
	s_cbranch_execz .LBB17_167
; %bb.166:
	v_mul_f32_e64 v3, 0x4f800000, |v1|
	v_cmp_gt_f32_e64 vcc_lo, 0xf800000, |v1|
	v_mul_f32_e32 v5, 0.5, v5
	v_cndmask_b32_e64 v1, |v1|, v3, vcc_lo
	v_mul_f32_e32 v2, v2, v5
	v_sqrt_f32_e32 v3, v1
	v_add_nc_u32_e32 v6, -1, v3
	v_add_nc_u32_e32 v7, 1, v3
	v_fma_f32 v8, -v6, v3, v1
	v_fma_f32 v9, -v7, v3, v1
	v_cmp_ge_f32_e64 s0, 0, v8
	v_cndmask_b32_e64 v3, v3, v6, s0
	v_cmp_lt_f32_e64 s0, 0, v9
	v_cndmask_b32_e64 v3, v3, v7, s0
	v_mul_f32_e32 v6, 0x37800000, v3
	v_cndmask_b32_e32 v3, v3, v6, vcc_lo
	v_cmp_class_f32_e64 vcc_lo, v1, 0x260
	v_cndmask_b32_e32 v1, v3, v1, vcc_lo
	v_div_scale_f32 v3, null, v1, v1, v2
	v_rcp_f32_e32 v5, v3
	v_fma_f32 v6, -v3, v5, 1.0
	v_fmac_f32_e32 v5, v6, v5
	v_div_scale_f32 v6, vcc_lo, v2, v1, v2
	v_mul_f32_e32 v7, v6, v5
	v_fma_f32 v8, -v3, v7, v6
	v_fmac_f32_e32 v7, v8, v5
	v_fma_f32 v3, -v3, v7, v6
	v_div_fmas_f32 v3, v3, v5, v7
                                        ; implicit-def: $vgpr5
	v_div_fixup_f32 v3, v3, v1, v2
                                        ; implicit-def: $vgpr1
                                        ; implicit-def: $vgpr2
.LBB17_167:
	s_andn2_saveexec_b32 s20, s20
	s_cbranch_execz .LBB17_169
; %bb.168:
	v_mul_f32_e64 v3, 0x4f800000, |v1|
	v_cmp_gt_f32_e64 vcc_lo, 0xf800000, |v1|
	v_mul_f32_e32 v5, -0.5, v5
	v_cndmask_b32_e64 v1, |v1|, v3, vcc_lo
	v_mul_f32_e32 v2, v2, v5
	v_sqrt_f32_e32 v3, v1
	v_add_nc_u32_e32 v6, -1, v3
	v_add_nc_u32_e32 v7, 1, v3
	v_fma_f32 v8, -v6, v3, v1
	v_fma_f32 v9, -v7, v3, v1
	v_cmp_ge_f32_e64 s0, 0, v8
	v_cndmask_b32_e64 v3, v3, v6, s0
	v_cmp_lt_f32_e64 s0, 0, v9
	v_cndmask_b32_e64 v3, v3, v7, s0
	v_mul_f32_e32 v6, 0x37800000, v3
	v_cndmask_b32_e32 v3, v3, v6, vcc_lo
	v_cmp_class_f32_e64 vcc_lo, v1, 0x260
	v_cndmask_b32_e32 v1, v3, v1, vcc_lo
	v_div_scale_f32 v3, null, v1, v1, v2
	v_rcp_f32_e32 v5, v3
	v_fma_f32 v6, -v3, v5, 1.0
	v_fmac_f32_e32 v5, v6, v5
	v_div_scale_f32 v6, vcc_lo, v2, v1, v2
	v_mul_f32_e32 v7, v6, v5
	v_fma_f32 v8, -v3, v7, v6
	v_fmac_f32_e32 v7, v8, v5
	v_fma_f32 v3, -v3, v7, v6
	v_div_fmas_f32 v3, v3, v5, v7
	v_div_fixup_f32 v3, v3, v1, v2
.LBB17_169:
	s_or_b32 exec_lo, exec_lo, s20
.LBB17_170:
	s_or_b32 exec_lo, exec_lo, s1
	v_add_nc_u32_e32 v4, 0x80, v4
	global_store_dword v0, v3, s[4:5]
	s_or_b32 exec_lo, exec_lo, s30
	s_mov_b32 s30, exec_lo
	v_cmpx_gt_i32_e64 s27, v4
	s_cbranch_execnz .LBB17_144
.LBB17_171:
	s_or_b32 exec_lo, exec_lo, s30
	s_mov_b32 s20, exec_lo
	v_cmpx_gt_i32_e64 s27, v4
	s_cbranch_execnz .LBB17_194
.LBB17_172:
	s_or_b32 exec_lo, exec_lo, s20
                                        ; implicit-def: $vgpr13
                                        ; implicit-def: $vgpr4
	s_andn2_saveexec_b32 s0, s25
	s_cbranch_execnz .LBB17_8
.LBB17_173:
	s_endpgm
.LBB17_174:
	v_mov_b32_e32 v0, 0
	v_mov_b32_e32 v2, 0
	;; [unrolled: 1-line block ×3, first 2 shown]
	s_mov_b32 s31, 0
.LBB17_175:
	s_and_b32 s33, s33, 3
	s_cmp_eq_u32 s33, 0
	s_cbranch_scc1 .LBB17_178
; %bb.176:
	s_lshl_b32 s0, s31, 3
	s_mul_i32 s20, s31, 12
	s_add_u32 s0, s2, s0
	s_addc_u32 s1, s3, 0
	s_add_u32 s0, s0, 0xc4
	s_addc_u32 s1, s1, 0
	;; [unrolled: 2-line block ×3, first 2 shown]
	.p2align	6
.LBB17_177:                             ; =>This Inner Loop Header: Depth=1
	s_clause 0x1
	s_load_dwordx2 s[34:35], s[20:21], 0x4
	s_load_dword s31, s[20:21], 0xc
	s_load_dwordx2 s[36:37], s[0:1], 0x0
	s_add_u32 s20, s20, 12
	s_addc_u32 s21, s21, 0
	s_add_u32 s0, s0, 8
	s_addc_u32 s1, s1, 0
	s_add_i32 s33, s33, -1
	s_cmp_lg_u32 s33, 0
	s_waitcnt lgkmcnt(0)
	v_mul_hi_u32 v3, s35, v1
	v_add_nc_u32_e32 v3, v1, v3
	v_lshrrev_b32_e32 v5, s31, v3
	v_mul_lo_u32 v3, v5, s34
	v_sub_nc_u32_e32 v3, v1, v3
	v_mad_u64_u32 v[0:1], null, v3, s36, v[0:1]
	v_mad_u64_u32 v[2:3], null, v3, s37, v[2:3]
	v_mov_b32_e32 v1, v5
	s_cbranch_scc1 .LBB17_177
.LBB17_178:
	s_cbranch_execnz .LBB17_181
.LBB17_179:
	s_waitcnt lgkmcnt(0)
	v_mul_hi_u32 v0, s13, v4
	s_andn2_b32 vcc_lo, exec_lo, s26
	v_add_nc_u32_e32 v0, v4, v0
	v_lshrrev_b32_e32 v1, s14, v0
	v_mul_lo_u32 v0, v1, s12
	v_sub_nc_u32_e32 v2, v4, v0
	v_mul_lo_u32 v0, v2, s8
	v_mul_lo_u32 v2, v2, s9
	s_cbranch_vccnz .LBB17_181
; %bb.180:
	v_mul_hi_u32 v3, s16, v1
	v_add_nc_u32_e32 v3, v1, v3
	v_lshrrev_b32_e32 v3, s17, v3
	v_mul_lo_u32 v3, v3, s15
	v_sub_nc_u32_e32 v3, v1, v3
	v_mad_u64_u32 v[0:1], null, v3, s10, v[0:1]
	v_mad_u64_u32 v[2:3], null, v3, s11, v[2:3]
.LBB17_181:
	s_waitcnt lgkmcnt(0)
	global_load_dword v1, v2, s[6:7]
	s_mov_b32 s1, exec_lo
                                        ; implicit-def: $vgpr3
	s_waitcnt vmcnt(0)
	v_mul_f32_e64 v2, 0x3fb8aa3b, |v1|
	v_cmpx_ge_f32_e64 0x41000000, |v1|
	s_xor_b32 s1, exec_lo, s1
	s_cbranch_execz .LBB17_187
; %bb.182:
	v_fma_f32 v3, |v1|, 0.5, -2.0
	s_mov_b32 s0, 0x224cf950
	v_rndne_f32_e32 v7, v2
	v_fma_f32 v8, 0x3fb8aa3b, |v1|, -v2
	v_cmp_ngt_f32_e64 vcc_lo, 0xc2ce8ed0, |v1|
	v_fmaak_f32 v5, s0, v3, 0xa3c2be86
	v_cmp_nlt_f32_e64 s0, 0x42b17218, |v1|
	v_sub_f32_e32 v2, v2, v7
	v_fma_f32 v8, 0x32a5705f, |v1|, v8
	v_fmaak_f32 v6, v3, v5, 0xa24cf950
	v_add_f32_e32 v2, v2, v8
	v_add_f32_e32 v6, 0x25331f1f, v6
	v_exp_f32_e32 v2, v2
	v_fma_f32 v5, v3, v6, -v5
	v_add_f32_e32 v5, 0xa69f5554, v5
	v_fma_f32 v6, v3, v5, -v6
	v_add_f32_e32 v6, 0x2808ebf8, v6
	;; [unrolled: 2-line block ×25, first 2 shown]
	v_fma_f32 v3, v3, v5, -v6
	v_cvt_i32_f32_e32 v5, v7
	v_add_f32_e32 v3, 0x3e81531c, v3
	v_ldexp_f32 v2, v2, v5
	v_sub_f32_e32 v3, v3, v6
	v_cndmask_b32_e32 v5, 0, v2, vcc_lo
	v_cmp_ngt_f32_e32 vcc_lo, 0, v1
	v_mul_f32_e32 v3, 0.5, v3
	v_mul_f32_e64 v2, |v1|, v3
	v_cndmask_b32_e64 v1, 0x7f800000, v5, s0
                                        ; implicit-def: $vgpr3
	s_and_saveexec_b32 s0, vcc_lo
	s_xor_b32 s0, exec_lo, s0
; %bb.183:
	v_mul_f32_e32 v3, v1, v2
                                        ; implicit-def: $vgpr1
                                        ; implicit-def: $vgpr2
; %bb.184:
	s_andn2_saveexec_b32 s0, s0
; %bb.185:
	v_mul_f32_e64 v3, v2, -v1
; %bb.186:
	s_or_b32 exec_lo, exec_lo, s0
                                        ; implicit-def: $vgpr1
                                        ; implicit-def: $vgpr2
.LBB17_187:
	s_andn2_saveexec_b32 s1, s1
	s_cbranch_execz .LBB17_193
; %bb.188:
	v_and_b32_e32 v3, 0x7fffffff, v1
	s_mov_b32 s0, 0x230aab6e
	v_div_scale_f32 v5, null, v3, v3, 0x42000000
	v_div_scale_f32 v3, vcc_lo, 0x42000000, v3, 0x42000000
	v_rcp_f32_e32 v6, v5
	v_fma_f32 v7, -v5, v6, 1.0
	v_fmac_f32_e32 v6, v7, v6
	v_mul_f32_e32 v7, v3, v6
	v_fma_f32 v8, -v5, v7, v3
	v_fmac_f32_e32 v7, v8, v6
	v_fma_f32 v8, 0x3fb8aa3b, |v1|, -v2
	v_fma_f32 v3, -v5, v7, v3
	v_fma_f32 v8, 0x32a5705f, |v1|, v8
	v_div_fmas_f32 v3, v3, v6, v7
	v_rndne_f32_e32 v7, v2
	v_cmp_ngt_f32_e64 vcc_lo, 0xc2ce8ed0, |v1|
	v_div_fixup_f32 v3, v3, |v1|, 0x42000000
	v_sub_f32_e32 v2, v2, v7
	v_cvt_i32_f32_e32 v7, v7
	v_add_f32_e32 v3, -2.0, v3
	v_add_f32_e32 v2, v2, v8
	v_fmaak_f32 v5, s0, v3, 0x22a2dc57
	v_exp_f32_e32 v2, v2
	v_cmp_nlt_f32_e64 s0, 0x42b17218, |v1|
	v_fmaak_f32 v6, v3, v5, 0xa30aab6e
	v_add_f32_e32 v6, 0xa456751e, v6
	v_ldexp_f32 v2, v2, v7
	v_fma_f32 v5, v3, v6, -v5
	v_cndmask_b32_e32 v2, 0, v2, vcc_lo
	v_add_f32_e32 v5, 0xa4140365, v5
	v_cndmask_b32_e64 v2, 0x7f800000, v2, s0
	s_mov_b32 s0, exec_lo
	v_fma_f32 v6, v3, v5, -v6
	v_add_f32_e32 v6, 0x25aac8b0, v6
	v_fma_f32 v5, v3, v6, -v5
	v_add_f32_e32 v5, 0x25beb473, v5
	;; [unrolled: 2-line block ×21, first 2 shown]
	v_sub_f32_e32 v5, v3, v6
                                        ; implicit-def: $vgpr3
	v_cmpx_ngt_f32_e32 0, v1
	s_xor_b32 s20, exec_lo, s0
	s_cbranch_execz .LBB17_190
; %bb.189:
	v_mul_f32_e64 v3, 0x4f800000, |v1|
	v_cmp_gt_f32_e64 vcc_lo, 0xf800000, |v1|
	v_mul_f32_e32 v5, 0.5, v5
	v_cndmask_b32_e64 v1, |v1|, v3, vcc_lo
	v_mul_f32_e32 v2, v2, v5
	v_sqrt_f32_e32 v3, v1
	v_add_nc_u32_e32 v6, -1, v3
	v_add_nc_u32_e32 v7, 1, v3
	v_fma_f32 v8, -v6, v3, v1
	v_fma_f32 v9, -v7, v3, v1
	v_cmp_ge_f32_e64 s0, 0, v8
	v_cndmask_b32_e64 v3, v3, v6, s0
	v_cmp_lt_f32_e64 s0, 0, v9
	v_cndmask_b32_e64 v3, v3, v7, s0
	v_mul_f32_e32 v6, 0x37800000, v3
	v_cndmask_b32_e32 v3, v3, v6, vcc_lo
	v_cmp_class_f32_e64 vcc_lo, v1, 0x260
	v_cndmask_b32_e32 v1, v3, v1, vcc_lo
	v_div_scale_f32 v3, null, v1, v1, v2
	v_rcp_f32_e32 v5, v3
	v_fma_f32 v6, -v3, v5, 1.0
	v_fmac_f32_e32 v5, v6, v5
	v_div_scale_f32 v6, vcc_lo, v2, v1, v2
	v_mul_f32_e32 v7, v6, v5
	v_fma_f32 v8, -v3, v7, v6
	v_fmac_f32_e32 v7, v8, v5
	v_fma_f32 v3, -v3, v7, v6
	v_div_fmas_f32 v3, v3, v5, v7
                                        ; implicit-def: $vgpr5
	v_div_fixup_f32 v3, v3, v1, v2
                                        ; implicit-def: $vgpr1
                                        ; implicit-def: $vgpr2
.LBB17_190:
	s_andn2_saveexec_b32 s20, s20
	s_cbranch_execz .LBB17_192
; %bb.191:
	v_mul_f32_e64 v3, 0x4f800000, |v1|
	v_cmp_gt_f32_e64 vcc_lo, 0xf800000, |v1|
	v_mul_f32_e32 v5, -0.5, v5
	v_cndmask_b32_e64 v1, |v1|, v3, vcc_lo
	v_mul_f32_e32 v2, v2, v5
	v_sqrt_f32_e32 v3, v1
	v_add_nc_u32_e32 v6, -1, v3
	v_add_nc_u32_e32 v7, 1, v3
	v_fma_f32 v8, -v6, v3, v1
	v_fma_f32 v9, -v7, v3, v1
	v_cmp_ge_f32_e64 s0, 0, v8
	v_cndmask_b32_e64 v3, v3, v6, s0
	v_cmp_lt_f32_e64 s0, 0, v9
	v_cndmask_b32_e64 v3, v3, v7, s0
	v_mul_f32_e32 v6, 0x37800000, v3
	v_cndmask_b32_e32 v3, v3, v6, vcc_lo
	v_cmp_class_f32_e64 vcc_lo, v1, 0x260
	v_cndmask_b32_e32 v1, v3, v1, vcc_lo
	v_div_scale_f32 v3, null, v1, v1, v2
	v_rcp_f32_e32 v5, v3
	v_fma_f32 v6, -v3, v5, 1.0
	v_fmac_f32_e32 v5, v6, v5
	v_div_scale_f32 v6, vcc_lo, v2, v1, v2
	v_mul_f32_e32 v7, v6, v5
	v_fma_f32 v8, -v3, v7, v6
	v_fmac_f32_e32 v7, v8, v5
	v_fma_f32 v3, -v3, v7, v6
	v_div_fmas_f32 v3, v3, v5, v7
	v_div_fixup_f32 v3, v3, v1, v2
.LBB17_192:
	s_or_b32 exec_lo, exec_lo, s20
.LBB17_193:
	s_or_b32 exec_lo, exec_lo, s1
	v_add_nc_u32_e32 v4, 0x80, v4
	global_store_dword v0, v3, s[4:5]
	s_or_b32 exec_lo, exec_lo, s30
	s_mov_b32 s20, exec_lo
	v_cmpx_gt_i32_e64 s27, v4
	s_cbranch_execz .LBB17_172
.LBB17_194:
	s_andn2_b32 vcc_lo, exec_lo, s24
	s_cbranch_vccnz .LBB17_199
; %bb.195:
	s_andn2_b32 vcc_lo, exec_lo, s29
	s_cbranch_vccnz .LBB17_200
; %bb.196:
	s_add_i32 s28, s28, 1
	s_cmp_eq_u32 s23, 2
	s_cbranch_scc1 .LBB17_201
; %bb.197:
	v_mov_b32_e32 v2, 0
	v_mov_b32_e32 v0, 0
	v_mov_b32_e32 v1, v4
	s_and_b32 s21, s28, 28
	s_mov_b32 s27, 0
	s_mov_b64 s[0:1], s[2:3]
.LBB17_198:                             ; =>This Inner Loop Header: Depth=1
	s_clause 0x1
	s_load_dwordx8 s[36:43], s[0:1], 0x4
	s_load_dwordx4 s[52:55], s[0:1], 0x24
	s_load_dwordx8 s[44:51], s[18:19], 0x0
	s_add_u32 s0, s0, 48
	s_addc_u32 s1, s1, 0
	s_add_i32 s27, s27, 4
	s_add_u32 s18, s18, 32
	s_addc_u32 s19, s19, 0
	s_cmp_eq_u32 s21, s27
	s_waitcnt lgkmcnt(0)
	v_mul_hi_u32 v3, s37, v1
	v_add_nc_u32_e32 v3, v1, v3
	v_lshrrev_b32_e32 v3, s38, v3
	v_mul_hi_u32 v5, s40, v3
	v_mul_lo_u32 v7, v3, s36
	v_add_nc_u32_e32 v5, v3, v5
	v_sub_nc_u32_e32 v1, v1, v7
	v_lshrrev_b32_e32 v5, s41, v5
	v_mul_lo_u32 v7, v1, s44
	v_mul_lo_u32 v9, v1, s45
	v_mul_hi_u32 v6, s43, v5
	v_add_nc_u32_e32 v6, v5, v6
	v_lshrrev_b32_e32 v6, s52, v6
	v_mul_hi_u32 v8, s54, v6
	v_mul_lo_u32 v10, v6, s42
	v_add_nc_u32_e32 v1, v6, v8
	v_mul_lo_u32 v8, v5, s39
	v_sub_nc_u32_e32 v5, v5, v10
	v_lshrrev_b32_e32 v1, s55, v1
	v_mul_lo_u32 v10, v5, s48
	v_mul_lo_u32 v5, v5, s49
	v_sub_nc_u32_e32 v3, v3, v8
	v_mul_lo_u32 v11, v1, s53
	v_mul_lo_u32 v8, v3, s46
	v_mul_lo_u32 v3, v3, s47
	v_sub_nc_u32_e32 v6, v6, v11
	v_add3_u32 v0, v7, v0, v8
	v_mul_lo_u32 v11, v6, s50
	v_mul_lo_u32 v6, v6, s51
	v_add3_u32 v2, v9, v2, v3
	v_add3_u32 v0, v10, v0, v11
	;; [unrolled: 1-line block ×3, first 2 shown]
	s_cbranch_scc0 .LBB17_198
	s_branch .LBB17_202
.LBB17_199:
                                        ; implicit-def: $vgpr0
                                        ; implicit-def: $vgpr2
	s_branch .LBB17_206
.LBB17_200:
	v_mov_b32_e32 v0, 0
	v_mov_b32_e32 v2, 0
	s_branch .LBB17_205
.LBB17_201:
	v_mov_b32_e32 v0, 0
	v_mov_b32_e32 v2, 0
	;; [unrolled: 1-line block ×3, first 2 shown]
	s_mov_b32 s21, 0
.LBB17_202:
	s_and_b32 s27, s28, 3
	s_cmp_eq_u32 s27, 0
	s_cbranch_scc1 .LBB17_205
; %bb.203:
	s_lshl_b32 s0, s21, 3
	s_mul_i32 s18, s21, 12
	s_add_u32 s0, s2, s0
	s_addc_u32 s1, s3, 0
	s_add_u32 s0, s0, 0xc4
	s_addc_u32 s1, s1, 0
	;; [unrolled: 2-line block ×3, first 2 shown]
	.p2align	6
.LBB17_204:                             ; =>This Inner Loop Header: Depth=1
	s_clause 0x1
	s_load_dwordx2 s[28:29], s[18:19], 0x4
	s_load_dword s21, s[18:19], 0xc
	s_load_dwordx2 s[30:31], s[0:1], 0x0
	s_add_u32 s18, s18, 12
	s_addc_u32 s19, s19, 0
	s_add_u32 s0, s0, 8
	s_addc_u32 s1, s1, 0
	s_add_i32 s27, s27, -1
	s_cmp_lg_u32 s27, 0
	s_waitcnt lgkmcnt(0)
	v_mul_hi_u32 v3, s29, v1
	v_add_nc_u32_e32 v3, v1, v3
	v_lshrrev_b32_e32 v5, s21, v3
	v_mul_lo_u32 v3, v5, s28
	v_sub_nc_u32_e32 v3, v1, v3
	v_mad_u64_u32 v[0:1], null, v3, s30, v[0:1]
	v_mad_u64_u32 v[2:3], null, v3, s31, v[2:3]
	v_mov_b32_e32 v1, v5
	s_cbranch_scc1 .LBB17_204
.LBB17_205:
	s_cbranch_execnz .LBB17_208
.LBB17_206:
	s_waitcnt lgkmcnt(0)
	v_mul_hi_u32 v0, s13, v4
	s_andn2_b32 vcc_lo, exec_lo, s26
	v_add_nc_u32_e32 v0, v4, v0
	v_lshrrev_b32_e32 v1, s14, v0
	v_mul_lo_u32 v0, v1, s12
	v_sub_nc_u32_e32 v2, v4, v0
	v_mul_lo_u32 v0, v2, s8
	v_mul_lo_u32 v2, v2, s9
	s_cbranch_vccnz .LBB17_208
; %bb.207:
	v_mul_hi_u32 v3, s16, v1
	v_add_nc_u32_e32 v3, v1, v3
	v_lshrrev_b32_e32 v3, s17, v3
	v_mul_lo_u32 v3, v3, s15
	v_sub_nc_u32_e32 v3, v1, v3
	v_mad_u64_u32 v[0:1], null, v3, s10, v[0:1]
	v_mad_u64_u32 v[2:3], null, v3, s11, v[2:3]
.LBB17_208:
	s_waitcnt lgkmcnt(0)
	global_load_dword v1, v2, s[6:7]
	s_mov_b32 s1, exec_lo
                                        ; implicit-def: $vgpr3
	s_waitcnt vmcnt(0)
	v_mul_f32_e64 v2, 0x3fb8aa3b, |v1|
	v_cmpx_ge_f32_e64 0x41000000, |v1|
	s_xor_b32 s1, exec_lo, s1
	s_cbranch_execz .LBB17_214
; %bb.209:
	v_fma_f32 v3, |v1|, 0.5, -2.0
	s_mov_b32 s0, 0x224cf950
	v_rndne_f32_e32 v6, v2
	v_fma_f32 v7, 0x3fb8aa3b, |v1|, -v2
	v_cmp_ngt_f32_e64 vcc_lo, 0xc2ce8ed0, |v1|
	v_fmaak_f32 v4, s0, v3, 0xa3c2be86
	v_cmp_nlt_f32_e64 s0, 0x42b17218, |v1|
	v_sub_f32_e32 v2, v2, v6
	v_fma_f32 v7, 0x32a5705f, |v1|, v7
	v_fmaak_f32 v5, v3, v4, 0xa24cf950
	v_add_f32_e32 v2, v2, v7
	v_add_f32_e32 v5, 0x25331f1f, v5
	v_exp_f32_e32 v2, v2
	v_fma_f32 v4, v3, v5, -v4
	v_add_f32_e32 v4, 0xa69f5554, v4
	v_fma_f32 v5, v3, v4, -v5
	v_add_f32_e32 v5, 0x2808ebf8, v5
	v_fma_f32 v4, v3, v5, -v4
	v_add_f32_e32 v4, 0xa9631471, v4
	v_fma_f32 v5, v3, v4, -v5
	v_add_f32_e32 v5, 0x2ab57bc2, v5
	v_fma_f32 v4, v3, v5, -v4
	v_add_f32_e32 v4, 0xac0b9c1b, v4
	v_fma_f32 v5, v3, v4, -v5
	v_add_f32_e32 v5, 0x2d4e7716, v5
	v_fma_f32 v4, v3, v5, -v4
	v_add_f32_e32 v4, 0xae92881d, v4
	v_fma_f32 v5, v3, v4, -v5
	v_add_f32_e32 v5, 0x2fc751a6, v5
	v_fma_f32 v4, v3, v5, -v4
	v_add_f32_e32 v4, 0xb101b0d9, v4
	v_fma_f32 v5, v3, v4, -v5
	v_add_f32_e32 v5, 0x32212c70, v5
	v_fma_f32 v4, v3, v5, -v4
	v_add_f32_e32 v4, 0xb33ee9f1, v4
	v_fma_f32 v5, v3, v4, -v5
	v_add_f32_e32 v5, 0x34571a26, v5
	v_fma_f32 v4, v3, v5, -v4
	v_add_f32_e32 v4, 0xb56603cc, v4
	v_fma_f32 v5, v3, v4, -v5
	v_add_f32_e32 v5, 0x3668e277, v5
	v_fma_f32 v4, v3, v5, -v4
	v_add_f32_e32 v4, 0xb75eafce, v4
	v_fma_f32 v5, v3, v4, -v5
	v_add_f32_e32 v5, 0x38488daa, v5
	v_fma_f32 v4, v3, v5, -v4
	v_add_f32_e32 v4, 0xb9299e57, v4
	v_fma_f32 v5, v3, v4, -v5
	v_add_f32_e32 v5, 0x3a064aee, v5
	v_fma_f32 v4, v3, v5, -v4
	v_add_f32_e32 v4, 0xbac66310, v4
	v_fma_f32 v5, v3, v4, -v5
	v_add_f32_e32 v5, 0x3b88329a, v5
	v_fma_f32 v4, v3, v5, -v4
	v_add_f32_e32 v4, 0xbc2d14fc, v4
	v_fma_f32 v5, v3, v4, -v5
	v_add_f32_e32 v5, 0x3cca8f1f, v5
	v_fma_f32 v4, v3, v5, -v4
	v_add_f32_e32 v4, 0xbd58dde3, v4
	v_fma_f32 v5, v3, v4, -v5
	v_add_f32_e32 v5, 0x3dd236d7, v5
	v_fma_f32 v4, v3, v5, -v4
	v_add_f32_e32 v4, 0xbe34a688, v4
	v_fma_f32 v3, v3, v4, -v5
	v_cvt_i32_f32_e32 v4, v6
	v_add_f32_e32 v3, 0x3e81531c, v3
	v_ldexp_f32 v2, v2, v4
	v_sub_f32_e32 v3, v3, v5
	v_cndmask_b32_e32 v4, 0, v2, vcc_lo
	v_cmp_ngt_f32_e32 vcc_lo, 0, v1
	v_mul_f32_e32 v3, 0.5, v3
	v_mul_f32_e64 v2, |v1|, v3
	v_cndmask_b32_e64 v1, 0x7f800000, v4, s0
                                        ; implicit-def: $vgpr3
	s_and_saveexec_b32 s0, vcc_lo
	s_xor_b32 s0, exec_lo, s0
; %bb.210:
	v_mul_f32_e32 v3, v1, v2
                                        ; implicit-def: $vgpr1
                                        ; implicit-def: $vgpr2
; %bb.211:
	s_andn2_saveexec_b32 s0, s0
; %bb.212:
	v_mul_f32_e64 v3, v2, -v1
; %bb.213:
	s_or_b32 exec_lo, exec_lo, s0
                                        ; implicit-def: $vgpr1
                                        ; implicit-def: $vgpr2
.LBB17_214:
	s_andn2_saveexec_b32 s1, s1
	s_cbranch_execz .LBB17_220
; %bb.215:
	v_and_b32_e32 v3, 0x7fffffff, v1
	s_mov_b32 s0, 0x230aab6e
	v_div_scale_f32 v4, null, v3, v3, 0x42000000
	v_div_scale_f32 v3, vcc_lo, 0x42000000, v3, 0x42000000
	v_rcp_f32_e32 v5, v4
	v_fma_f32 v6, -v4, v5, 1.0
	v_fmac_f32_e32 v5, v6, v5
	v_mul_f32_e32 v6, v3, v5
	v_fma_f32 v7, -v4, v6, v3
	v_fmac_f32_e32 v6, v7, v5
	v_fma_f32 v7, 0x3fb8aa3b, |v1|, -v2
	v_fma_f32 v3, -v4, v6, v3
	v_fma_f32 v7, 0x32a5705f, |v1|, v7
	v_div_fmas_f32 v3, v3, v5, v6
	v_rndne_f32_e32 v6, v2
	v_cmp_ngt_f32_e64 vcc_lo, 0xc2ce8ed0, |v1|
	v_div_fixup_f32 v3, v3, |v1|, 0x42000000
	v_sub_f32_e32 v2, v2, v6
	v_cvt_i32_f32_e32 v6, v6
	v_add_f32_e32 v3, -2.0, v3
	v_add_f32_e32 v2, v2, v7
	v_fmaak_f32 v4, s0, v3, 0x22a2dc57
	v_exp_f32_e32 v2, v2
	v_cmp_nlt_f32_e64 s0, 0x42b17218, |v1|
	v_fmaak_f32 v5, v3, v4, 0xa30aab6e
	v_add_f32_e32 v5, 0xa456751e, v5
	v_ldexp_f32 v2, v2, v6
	v_fma_f32 v4, v3, v5, -v4
	v_cndmask_b32_e32 v2, 0, v2, vcc_lo
	v_add_f32_e32 v4, 0xa4140365, v4
	v_cndmask_b32_e64 v2, 0x7f800000, v2, s0
	s_mov_b32 s0, exec_lo
	v_fma_f32 v5, v3, v4, -v5
	v_add_f32_e32 v5, 0x25aac8b0, v5
	v_fma_f32 v4, v3, v5, -v4
	v_add_f32_e32 v4, 0x25beb473, v4
	;; [unrolled: 2-line block ×21, first 2 shown]
	v_sub_f32_e32 v4, v3, v5
                                        ; implicit-def: $vgpr3
	v_cmpx_ngt_f32_e32 0, v1
	s_xor_b32 s6, exec_lo, s0
	s_cbranch_execz .LBB17_217
; %bb.216:
	v_mul_f32_e64 v3, 0x4f800000, |v1|
	v_cmp_gt_f32_e64 vcc_lo, 0xf800000, |v1|
	v_mul_f32_e32 v4, 0.5, v4
	v_cndmask_b32_e64 v1, |v1|, v3, vcc_lo
	v_mul_f32_e32 v2, v2, v4
	v_sqrt_f32_e32 v3, v1
	v_add_nc_u32_e32 v5, -1, v3
	v_add_nc_u32_e32 v6, 1, v3
	v_fma_f32 v7, -v5, v3, v1
	v_fma_f32 v8, -v6, v3, v1
	v_cmp_ge_f32_e64 s0, 0, v7
	v_cndmask_b32_e64 v3, v3, v5, s0
	v_cmp_lt_f32_e64 s0, 0, v8
	v_cndmask_b32_e64 v3, v3, v6, s0
	v_mul_f32_e32 v5, 0x37800000, v3
	v_cndmask_b32_e32 v3, v3, v5, vcc_lo
	v_cmp_class_f32_e64 vcc_lo, v1, 0x260
	v_cndmask_b32_e32 v1, v3, v1, vcc_lo
	v_div_scale_f32 v3, null, v1, v1, v2
	v_rcp_f32_e32 v4, v3
	v_fma_f32 v5, -v3, v4, 1.0
	v_fmac_f32_e32 v4, v5, v4
	v_div_scale_f32 v5, vcc_lo, v2, v1, v2
	v_mul_f32_e32 v6, v5, v4
	v_fma_f32 v7, -v3, v6, v5
	v_fmac_f32_e32 v6, v7, v4
	v_fma_f32 v3, -v3, v6, v5
	v_div_fmas_f32 v3, v3, v4, v6
                                        ; implicit-def: $vgpr4
	v_div_fixup_f32 v3, v3, v1, v2
                                        ; implicit-def: $vgpr1
                                        ; implicit-def: $vgpr2
.LBB17_217:
	s_andn2_saveexec_b32 s6, s6
	s_cbranch_execz .LBB17_219
; %bb.218:
	v_mul_f32_e64 v3, 0x4f800000, |v1|
	v_cmp_gt_f32_e64 vcc_lo, 0xf800000, |v1|
	v_mul_f32_e32 v4, -0.5, v4
	v_cndmask_b32_e64 v1, |v1|, v3, vcc_lo
	v_mul_f32_e32 v2, v2, v4
	v_sqrt_f32_e32 v3, v1
	v_add_nc_u32_e32 v5, -1, v3
	v_add_nc_u32_e32 v6, 1, v3
	v_fma_f32 v7, -v5, v3, v1
	v_fma_f32 v8, -v6, v3, v1
	v_cmp_ge_f32_e64 s0, 0, v7
	v_cndmask_b32_e64 v3, v3, v5, s0
	v_cmp_lt_f32_e64 s0, 0, v8
	v_cndmask_b32_e64 v3, v3, v6, s0
	v_mul_f32_e32 v5, 0x37800000, v3
	v_cndmask_b32_e32 v3, v3, v5, vcc_lo
	v_cmp_class_f32_e64 vcc_lo, v1, 0x260
	v_cndmask_b32_e32 v1, v3, v1, vcc_lo
	v_div_scale_f32 v3, null, v1, v1, v2
	v_rcp_f32_e32 v4, v3
	v_fma_f32 v5, -v3, v4, 1.0
	v_fmac_f32_e32 v4, v5, v4
	v_div_scale_f32 v5, vcc_lo, v2, v1, v2
	v_mul_f32_e32 v6, v5, v4
	v_fma_f32 v7, -v3, v6, v5
	v_fmac_f32_e32 v6, v7, v4
	v_fma_f32 v3, -v3, v6, v5
	v_div_fmas_f32 v3, v3, v4, v6
	v_div_fixup_f32 v3, v3, v1, v2
.LBB17_219:
	s_or_b32 exec_lo, exec_lo, s6
.LBB17_220:
	s_or_b32 exec_lo, exec_lo, s1
	global_store_dword v0, v3, s[4:5]
	s_or_b32 exec_lo, exec_lo, s20
                                        ; implicit-def: $vgpr13
                                        ; implicit-def: $vgpr4
	s_andn2_saveexec_b32 s0, s25
	s_cbranch_execz .LBB17_173
	s_branch .LBB17_8
	.section	.rodata,"a",@progbits
	.p2align	6, 0x0
	.amdhsa_kernel _ZN2at6native32elementwise_kernel_manual_unrollILi128ELi4EZNS0_22gpu_kernel_impl_nocastIZZZNS0_12_GLOBAL__N_130modified_bessel_i1_kernel_cudaERNS_18TensorIteratorBaseEENKUlvE_clEvENKUlvE0_clEvEUlfE_EEvS5_RKT_EUlibE_EEviT1_
		.amdhsa_group_segment_fixed_size 0
		.amdhsa_private_segment_fixed_size 0
		.amdhsa_kernarg_size 360
		.amdhsa_user_sgpr_count 6
		.amdhsa_user_sgpr_private_segment_buffer 1
		.amdhsa_user_sgpr_dispatch_ptr 0
		.amdhsa_user_sgpr_queue_ptr 0
		.amdhsa_user_sgpr_kernarg_segment_ptr 1
		.amdhsa_user_sgpr_dispatch_id 0
		.amdhsa_user_sgpr_flat_scratch_init 0
		.amdhsa_user_sgpr_private_segment_size 0
		.amdhsa_wavefront_size32 1
		.amdhsa_uses_dynamic_stack 0
		.amdhsa_system_sgpr_private_segment_wavefront_offset 0
		.amdhsa_system_sgpr_workgroup_id_x 1
		.amdhsa_system_sgpr_workgroup_id_y 0
		.amdhsa_system_sgpr_workgroup_id_z 0
		.amdhsa_system_sgpr_workgroup_info 0
		.amdhsa_system_vgpr_workitem_id 0
		.amdhsa_next_free_vgpr 18
		.amdhsa_next_free_sgpr 56
		.amdhsa_reserve_vcc 1
		.amdhsa_reserve_flat_scratch 0
		.amdhsa_float_round_mode_32 0
		.amdhsa_float_round_mode_16_64 0
		.amdhsa_float_denorm_mode_32 3
		.amdhsa_float_denorm_mode_16_64 3
		.amdhsa_dx10_clamp 1
		.amdhsa_ieee_mode 1
		.amdhsa_fp16_overflow 0
		.amdhsa_workgroup_processor_mode 1
		.amdhsa_memory_ordered 1
		.amdhsa_forward_progress 1
		.amdhsa_shared_vgpr_count 0
		.amdhsa_exception_fp_ieee_invalid_op 0
		.amdhsa_exception_fp_denorm_src 0
		.amdhsa_exception_fp_ieee_div_zero 0
		.amdhsa_exception_fp_ieee_overflow 0
		.amdhsa_exception_fp_ieee_underflow 0
		.amdhsa_exception_fp_ieee_inexact 0
		.amdhsa_exception_int_div_zero 0
	.end_amdhsa_kernel
	.section	.text._ZN2at6native32elementwise_kernel_manual_unrollILi128ELi4EZNS0_22gpu_kernel_impl_nocastIZZZNS0_12_GLOBAL__N_130modified_bessel_i1_kernel_cudaERNS_18TensorIteratorBaseEENKUlvE_clEvENKUlvE0_clEvEUlfE_EEvS5_RKT_EUlibE_EEviT1_,"axG",@progbits,_ZN2at6native32elementwise_kernel_manual_unrollILi128ELi4EZNS0_22gpu_kernel_impl_nocastIZZZNS0_12_GLOBAL__N_130modified_bessel_i1_kernel_cudaERNS_18TensorIteratorBaseEENKUlvE_clEvENKUlvE0_clEvEUlfE_EEvS5_RKT_EUlibE_EEviT1_,comdat
.Lfunc_end17:
	.size	_ZN2at6native32elementwise_kernel_manual_unrollILi128ELi4EZNS0_22gpu_kernel_impl_nocastIZZZNS0_12_GLOBAL__N_130modified_bessel_i1_kernel_cudaERNS_18TensorIteratorBaseEENKUlvE_clEvENKUlvE0_clEvEUlfE_EEvS5_RKT_EUlibE_EEviT1_, .Lfunc_end17-_ZN2at6native32elementwise_kernel_manual_unrollILi128ELi4EZNS0_22gpu_kernel_impl_nocastIZZZNS0_12_GLOBAL__N_130modified_bessel_i1_kernel_cudaERNS_18TensorIteratorBaseEENKUlvE_clEvENKUlvE0_clEvEUlfE_EEvS5_RKT_EUlibE_EEviT1_
                                        ; -- End function
	.set _ZN2at6native32elementwise_kernel_manual_unrollILi128ELi4EZNS0_22gpu_kernel_impl_nocastIZZZNS0_12_GLOBAL__N_130modified_bessel_i1_kernel_cudaERNS_18TensorIteratorBaseEENKUlvE_clEvENKUlvE0_clEvEUlfE_EEvS5_RKT_EUlibE_EEviT1_.num_vgpr, 18
	.set _ZN2at6native32elementwise_kernel_manual_unrollILi128ELi4EZNS0_22gpu_kernel_impl_nocastIZZZNS0_12_GLOBAL__N_130modified_bessel_i1_kernel_cudaERNS_18TensorIteratorBaseEENKUlvE_clEvENKUlvE0_clEvEUlfE_EEvS5_RKT_EUlibE_EEviT1_.num_agpr, 0
	.set _ZN2at6native32elementwise_kernel_manual_unrollILi128ELi4EZNS0_22gpu_kernel_impl_nocastIZZZNS0_12_GLOBAL__N_130modified_bessel_i1_kernel_cudaERNS_18TensorIteratorBaseEENKUlvE_clEvENKUlvE0_clEvEUlfE_EEvS5_RKT_EUlibE_EEviT1_.numbered_sgpr, 56
	.set _ZN2at6native32elementwise_kernel_manual_unrollILi128ELi4EZNS0_22gpu_kernel_impl_nocastIZZZNS0_12_GLOBAL__N_130modified_bessel_i1_kernel_cudaERNS_18TensorIteratorBaseEENKUlvE_clEvENKUlvE0_clEvEUlfE_EEvS5_RKT_EUlibE_EEviT1_.num_named_barrier, 0
	.set _ZN2at6native32elementwise_kernel_manual_unrollILi128ELi4EZNS0_22gpu_kernel_impl_nocastIZZZNS0_12_GLOBAL__N_130modified_bessel_i1_kernel_cudaERNS_18TensorIteratorBaseEENKUlvE_clEvENKUlvE0_clEvEUlfE_EEvS5_RKT_EUlibE_EEviT1_.private_seg_size, 0
	.set _ZN2at6native32elementwise_kernel_manual_unrollILi128ELi4EZNS0_22gpu_kernel_impl_nocastIZZZNS0_12_GLOBAL__N_130modified_bessel_i1_kernel_cudaERNS_18TensorIteratorBaseEENKUlvE_clEvENKUlvE0_clEvEUlfE_EEvS5_RKT_EUlibE_EEviT1_.uses_vcc, 1
	.set _ZN2at6native32elementwise_kernel_manual_unrollILi128ELi4EZNS0_22gpu_kernel_impl_nocastIZZZNS0_12_GLOBAL__N_130modified_bessel_i1_kernel_cudaERNS_18TensorIteratorBaseEENKUlvE_clEvENKUlvE0_clEvEUlfE_EEvS5_RKT_EUlibE_EEviT1_.uses_flat_scratch, 0
	.set _ZN2at6native32elementwise_kernel_manual_unrollILi128ELi4EZNS0_22gpu_kernel_impl_nocastIZZZNS0_12_GLOBAL__N_130modified_bessel_i1_kernel_cudaERNS_18TensorIteratorBaseEENKUlvE_clEvENKUlvE0_clEvEUlfE_EEvS5_RKT_EUlibE_EEviT1_.has_dyn_sized_stack, 0
	.set _ZN2at6native32elementwise_kernel_manual_unrollILi128ELi4EZNS0_22gpu_kernel_impl_nocastIZZZNS0_12_GLOBAL__N_130modified_bessel_i1_kernel_cudaERNS_18TensorIteratorBaseEENKUlvE_clEvENKUlvE0_clEvEUlfE_EEvS5_RKT_EUlibE_EEviT1_.has_recursion, 0
	.set _ZN2at6native32elementwise_kernel_manual_unrollILi128ELi4EZNS0_22gpu_kernel_impl_nocastIZZZNS0_12_GLOBAL__N_130modified_bessel_i1_kernel_cudaERNS_18TensorIteratorBaseEENKUlvE_clEvENKUlvE0_clEvEUlfE_EEvS5_RKT_EUlibE_EEviT1_.has_indirect_call, 0
	.section	.AMDGPU.csdata,"",@progbits
; Kernel info:
; codeLenInByte = 19308
; TotalNumSgprs: 58
; NumVgprs: 18
; ScratchSize: 0
; MemoryBound: 0
; FloatMode: 240
; IeeeMode: 1
; LDSByteSize: 0 bytes/workgroup (compile time only)
; SGPRBlocks: 0
; VGPRBlocks: 2
; NumSGPRsForWavesPerEU: 58
; NumVGPRsForWavesPerEU: 18
; Occupancy: 16
; WaveLimiterHint : 1
; COMPUTE_PGM_RSRC2:SCRATCH_EN: 0
; COMPUTE_PGM_RSRC2:USER_SGPR: 6
; COMPUTE_PGM_RSRC2:TRAP_HANDLER: 0
; COMPUTE_PGM_RSRC2:TGID_X_EN: 1
; COMPUTE_PGM_RSRC2:TGID_Y_EN: 0
; COMPUTE_PGM_RSRC2:TGID_Z_EN: 0
; COMPUTE_PGM_RSRC2:TIDIG_COMP_CNT: 0
	.section	.text._ZN2at6native32elementwise_kernel_manual_unrollILi128ELi4EZNS0_15gpu_kernel_implIZZZNS0_12_GLOBAL__N_130modified_bessel_i1_kernel_cudaERNS_18TensorIteratorBaseEENKUlvE_clEvENKUlvE0_clEvEUlfE_EEvS5_RKT_EUlibE_EEviT1_,"axG",@progbits,_ZN2at6native32elementwise_kernel_manual_unrollILi128ELi4EZNS0_15gpu_kernel_implIZZZNS0_12_GLOBAL__N_130modified_bessel_i1_kernel_cudaERNS_18TensorIteratorBaseEENKUlvE_clEvENKUlvE0_clEvEUlfE_EEvS5_RKT_EUlibE_EEviT1_,comdat
	.globl	_ZN2at6native32elementwise_kernel_manual_unrollILi128ELi4EZNS0_15gpu_kernel_implIZZZNS0_12_GLOBAL__N_130modified_bessel_i1_kernel_cudaERNS_18TensorIteratorBaseEENKUlvE_clEvENKUlvE0_clEvEUlfE_EEvS5_RKT_EUlibE_EEviT1_ ; -- Begin function _ZN2at6native32elementwise_kernel_manual_unrollILi128ELi4EZNS0_15gpu_kernel_implIZZZNS0_12_GLOBAL__N_130modified_bessel_i1_kernel_cudaERNS_18TensorIteratorBaseEENKUlvE_clEvENKUlvE0_clEvEUlfE_EEvS5_RKT_EUlibE_EEviT1_
	.p2align	8
	.type	_ZN2at6native32elementwise_kernel_manual_unrollILi128ELi4EZNS0_15gpu_kernel_implIZZZNS0_12_GLOBAL__N_130modified_bessel_i1_kernel_cudaERNS_18TensorIteratorBaseEENKUlvE_clEvENKUlvE0_clEvEUlfE_EEvS5_RKT_EUlibE_EEviT1_,@function
_ZN2at6native32elementwise_kernel_manual_unrollILi128ELi4EZNS0_15gpu_kernel_implIZZZNS0_12_GLOBAL__N_130modified_bessel_i1_kernel_cudaERNS_18TensorIteratorBaseEENKUlvE_clEvENKUlvE0_clEvEUlfE_EEvS5_RKT_EUlibE_EEviT1_: ; @_ZN2at6native32elementwise_kernel_manual_unrollILi128ELi4EZNS0_15gpu_kernel_implIZZZNS0_12_GLOBAL__N_130modified_bessel_i1_kernel_cudaERNS_18TensorIteratorBaseEENKUlvE_clEvENKUlvE0_clEvEUlfE_EEvS5_RKT_EUlibE_EEviT1_
; %bb.0:
	v_mov_b32_e32 v1, 0
	s_clause 0x2
	s_load_dword s12, s[4:5], 0x0
	s_load_dwordx2 s[2:3], s[4:5], 0x18
	s_load_dwordx4 s[8:11], s[4:5], 0x8
	v_lshl_or_b32 v7, s6, 9, v0
	s_mov_b32 s7, 0
	global_load_ushort v1, v1, s[4:5] offset:33
	s_mov_b32 s4, 0
	v_or_b32_e32 v0, 0x180, v7
	s_waitcnt vmcnt(0)
	v_readfirstlane_b32 s1, v1
	s_and_b32 s0, 0xffff, s1
	s_lshr_b32 s5, s0, 8
	s_mov_b32 s0, exec_lo
	s_waitcnt lgkmcnt(0)
	v_cmpx_le_i32_e64 s12, v0
	s_xor_b32 s6, exec_lo, s0
	s_cbranch_execz .LBB18_1079
; %bb.1:
	s_mov_b32 s17, -1
	s_mov_b32 s15, 0
	s_mov_b32 s13, 0
	s_mov_b32 s14, exec_lo
	v_cmpx_gt_i32_e64 s12, v7
	s_cbranch_execz .LBB18_264
; %bb.2:
	v_mul_lo_u32 v0, v7, s3
	s_and_b32 s0, 0xffff, s5
	s_cmp_lt_i32 s0, 11
	v_ashrrev_i32_e32 v1, 31, v0
	v_add_co_u32 v0, vcc_lo, s10, v0
	v_add_co_ci_u32_e64 v1, null, s11, v1, vcc_lo
	s_cbranch_scc1 .LBB18_9
; %bb.3:
	s_cmp_gt_i32 s0, 25
	s_cbranch_scc0 .LBB18_30
; %bb.4:
	s_cmp_gt_i32 s0, 28
	s_cbranch_scc0 .LBB18_33
	;; [unrolled: 3-line block ×4, first 2 shown]
; %bb.7:
	s_cmp_eq_u32 s0, 46
	s_mov_b32 s16, 0
	s_cbranch_scc0 .LBB18_39
; %bb.8:
	global_load_dword v2, v[0:1], off
	s_mov_b32 s7, -1
	s_waitcnt vmcnt(0)
	v_lshlrev_b32_e32 v2, 16, v2
	s_branch .LBB18_41
.LBB18_9:
                                        ; implicit-def: $vgpr2
	s_cbranch_execnz .LBB18_214
.LBB18_10:
	s_andn2_b32 vcc_lo, exec_lo, s7
	s_cbranch_vccnz .LBB18_261
.LBB18_11:
	s_waitcnt vmcnt(0)
	v_mul_f32_e64 v1, 0x3fb8aa3b, |v2|
	s_mov_b32 s7, exec_lo
                                        ; implicit-def: $vgpr0
	v_cmpx_ge_f32_e64 0x41000000, |v2|
	s_xor_b32 s7, exec_lo, s7
	s_cbranch_execz .LBB18_17
; %bb.12:
	v_fma_f32 v0, |v2|, 0.5, -2.0
	s_mov_b32 s0, 0x224cf950
	v_rndne_f32_e32 v5, v1
	v_fma_f32 v6, 0x3fb8aa3b, |v2|, -v1
	v_cmp_ngt_f32_e64 vcc_lo, 0xc2ce8ed0, |v2|
	v_fmaak_f32 v3, s0, v0, 0xa3c2be86
	v_cmp_nlt_f32_e64 s0, 0x42b17218, |v2|
	v_sub_f32_e32 v1, v1, v5
	v_fma_f32 v6, 0x32a5705f, |v2|, v6
	v_fmaak_f32 v4, v0, v3, 0xa24cf950
	v_add_f32_e32 v1, v1, v6
	v_add_f32_e32 v4, 0x25331f1f, v4
	v_exp_f32_e32 v1, v1
	v_fma_f32 v3, v0, v4, -v3
	v_add_f32_e32 v3, 0xa69f5554, v3
	v_fma_f32 v4, v0, v3, -v4
	v_add_f32_e32 v4, 0x2808ebf8, v4
	;; [unrolled: 2-line block ×25, first 2 shown]
	v_fma_f32 v0, v0, v3, -v4
	v_cvt_i32_f32_e32 v3, v5
	v_add_f32_e32 v0, 0x3e81531c, v0
	v_ldexp_f32 v1, v1, v3
	v_sub_f32_e32 v0, v0, v4
	v_cndmask_b32_e32 v3, 0, v1, vcc_lo
	v_cmp_ngt_f32_e32 vcc_lo, 0, v2
	v_mul_f32_e32 v0, 0.5, v0
	v_mul_f32_e64 v1, |v2|, v0
	v_cndmask_b32_e64 v2, 0x7f800000, v3, s0
                                        ; implicit-def: $vgpr0
	s_and_saveexec_b32 s0, vcc_lo
	s_xor_b32 s0, exec_lo, s0
; %bb.13:
	v_mul_f32_e32 v0, v2, v1
                                        ; implicit-def: $vgpr2
                                        ; implicit-def: $vgpr1
; %bb.14:
	s_andn2_saveexec_b32 s0, s0
; %bb.15:
	v_mul_f32_e64 v0, v1, -v2
; %bb.16:
	s_or_b32 exec_lo, exec_lo, s0
                                        ; implicit-def: $vgpr2
                                        ; implicit-def: $vgpr1
.LBB18_17:
	s_andn2_saveexec_b32 s7, s7
	s_cbranch_execz .LBB18_23
; %bb.18:
	v_and_b32_e32 v0, 0x7fffffff, v2
	s_mov_b32 s0, 0x230aab6e
	v_div_scale_f32 v3, null, v0, v0, 0x42000000
	v_div_scale_f32 v0, vcc_lo, 0x42000000, v0, 0x42000000
	v_rcp_f32_e32 v4, v3
	v_fma_f32 v5, -v3, v4, 1.0
	v_fmac_f32_e32 v4, v5, v4
	v_mul_f32_e32 v5, v0, v4
	v_fma_f32 v6, -v3, v5, v0
	v_fmac_f32_e32 v5, v6, v4
	v_fma_f32 v6, 0x3fb8aa3b, |v2|, -v1
	v_fma_f32 v0, -v3, v5, v0
	v_fma_f32 v6, 0x32a5705f, |v2|, v6
	v_div_fmas_f32 v0, v0, v4, v5
	v_rndne_f32_e32 v5, v1
	v_cmp_ngt_f32_e64 vcc_lo, 0xc2ce8ed0, |v2|
	v_div_fixup_f32 v0, v0, |v2|, 0x42000000
	v_sub_f32_e32 v1, v1, v5
	v_cvt_i32_f32_e32 v5, v5
	v_add_f32_e32 v0, -2.0, v0
	v_add_f32_e32 v1, v1, v6
	v_fmaak_f32 v3, s0, v0, 0x22a2dc57
	v_exp_f32_e32 v1, v1
	v_cmp_nlt_f32_e64 s0, 0x42b17218, |v2|
	v_fmaak_f32 v4, v0, v3, 0xa30aab6e
	v_add_f32_e32 v4, 0xa456751e, v4
	v_ldexp_f32 v1, v1, v5
	v_fma_f32 v3, v0, v4, -v3
	v_cndmask_b32_e32 v1, 0, v1, vcc_lo
	v_add_f32_e32 v3, 0xa4140365, v3
	v_cndmask_b32_e64 v1, 0x7f800000, v1, s0
	s_mov_b32 s0, exec_lo
	v_fma_f32 v4, v0, v3, -v4
	v_add_f32_e32 v4, 0x25aac8b0, v4
	v_fma_f32 v3, v0, v4, -v3
	v_add_f32_e32 v3, 0x25beb473, v3
	;; [unrolled: 2-line block ×21, first 2 shown]
	v_sub_f32_e32 v3, v0, v4
	v_mul_f32_e64 v4, 0x4f800000, |v2|
                                        ; implicit-def: $vgpr0
	v_cmpx_ngt_f32_e32 0, v2
	s_xor_b32 s16, exec_lo, s0
	s_cbranch_execz .LBB18_20
; %bb.19:
	v_cmp_gt_f32_e64 vcc_lo, 0xf800000, |v2|
	v_mul_f32_e32 v3, 0.5, v3
	v_cndmask_b32_e64 v0, |v2|, v4, vcc_lo
	v_mul_f32_e32 v1, v1, v3
	v_sqrt_f32_e32 v2, v0
	v_add_nc_u32_e32 v4, -1, v2
	v_add_nc_u32_e32 v5, 1, v2
	v_fma_f32 v6, -v4, v2, v0
	v_fma_f32 v8, -v5, v2, v0
	v_cmp_ge_f32_e64 s0, 0, v6
	v_cndmask_b32_e64 v2, v2, v4, s0
	v_cmp_lt_f32_e64 s0, 0, v8
	v_cndmask_b32_e64 v2, v2, v5, s0
	v_mul_f32_e32 v4, 0x37800000, v2
	v_cndmask_b32_e32 v2, v2, v4, vcc_lo
	v_cmp_class_f32_e64 vcc_lo, v0, 0x260
	v_cndmask_b32_e32 v0, v2, v0, vcc_lo
	v_div_scale_f32 v2, null, v0, v0, v1
	v_rcp_f32_e32 v3, v2
	v_fma_f32 v4, -v2, v3, 1.0
	v_fmac_f32_e32 v3, v4, v3
	v_div_scale_f32 v4, vcc_lo, v1, v0, v1
	v_mul_f32_e32 v5, v4, v3
	v_fma_f32 v6, -v2, v5, v4
	v_fmac_f32_e32 v5, v6, v3
	v_fma_f32 v2, -v2, v5, v4
                                        ; implicit-def: $vgpr4
	v_div_fmas_f32 v2, v2, v3, v5
                                        ; implicit-def: $vgpr3
	v_div_fixup_f32 v0, v2, v0, v1
                                        ; implicit-def: $vgpr2
                                        ; implicit-def: $vgpr1
.LBB18_20:
	s_andn2_saveexec_b32 s16, s16
	s_cbranch_execz .LBB18_22
; %bb.21:
	v_cmp_gt_f32_e64 vcc_lo, 0xf800000, |v2|
	v_mul_f32_e32 v3, -0.5, v3
	v_cndmask_b32_e64 v0, |v2|, v4, vcc_lo
	v_mul_f32_e32 v1, v1, v3
	v_sqrt_f32_e32 v2, v0
	v_add_nc_u32_e32 v4, -1, v2
	v_add_nc_u32_e32 v5, 1, v2
	v_fma_f32 v6, -v4, v2, v0
	v_fma_f32 v8, -v5, v2, v0
	v_cmp_ge_f32_e64 s0, 0, v6
	v_cndmask_b32_e64 v2, v2, v4, s0
	v_cmp_lt_f32_e64 s0, 0, v8
	v_cndmask_b32_e64 v2, v2, v5, s0
	v_mul_f32_e32 v4, 0x37800000, v2
	v_cndmask_b32_e32 v2, v2, v4, vcc_lo
	v_cmp_class_f32_e64 vcc_lo, v0, 0x260
	v_cndmask_b32_e32 v0, v2, v0, vcc_lo
	v_div_scale_f32 v2, null, v0, v0, v1
	v_rcp_f32_e32 v3, v2
	v_fma_f32 v4, -v2, v3, 1.0
	v_fmac_f32_e32 v3, v4, v3
	v_div_scale_f32 v4, vcc_lo, v1, v0, v1
	v_mul_f32_e32 v5, v4, v3
	v_fma_f32 v6, -v2, v5, v4
	v_fmac_f32_e32 v5, v6, v3
	v_fma_f32 v2, -v2, v5, v4
	v_div_fmas_f32 v2, v2, v3, v5
	v_div_fixup_f32 v0, v2, v0, v1
.LBB18_22:
	s_or_b32 exec_lo, exec_lo, s16
.LBB18_23:
	s_or_b32 exec_lo, exec_lo, s7
	v_mul_lo_u32 v1, v7, s2
	s_and_b32 s7, s1, 0xff
	s_cmp_lt_i32 s7, 11
	v_ashrrev_i32_e32 v3, 31, v1
	v_add_co_u32 v2, vcc_lo, s8, v1
	v_add_co_ci_u32_e64 v3, null, s9, v3, vcc_lo
	s_cbranch_scc1 .LBB18_31
; %bb.24:
	s_and_b32 s16, 0xffff, s7
	s_cmp_gt_i32 s16, 25
	s_cbranch_scc0 .LBB18_34
; %bb.25:
	s_cmp_gt_i32 s16, 28
	s_cbranch_scc0 .LBB18_36
; %bb.26:
	;; [unrolled: 3-line block ×4, first 2 shown]
	s_mov_b32 s18, 0
	s_mov_b32 s0, -1
	s_cmp_eq_u32 s16, 46
	s_mov_b32 s17, 0
	s_cbranch_scc0 .LBB18_45
; %bb.29:
	v_bfe_u32 v1, v0, 16, 1
	v_cmp_o_f32_e32 vcc_lo, v0, v0
	v_mov_b32_e32 v4, 0x7fc0
	s_mov_b32 s17, -1
	s_mov_b32 s0, 0
	v_add3_u32 v1, v0, v1, 0x7fff
	v_cndmask_b32_sdwa v1, v4, v1, vcc_lo dst_sel:DWORD dst_unused:UNUSED_PAD src0_sel:DWORD src1_sel:WORD_1
	global_store_dword v[2:3], v1, off
	s_branch .LBB18_45
.LBB18_30:
                                        ; implicit-def: $vgpr2
	s_cbranch_execnz .LBB18_179
	s_branch .LBB18_213
.LBB18_31:
	s_mov_b32 s0, 0
	s_mov_b32 s17, 0
	s_cbranch_execnz .LBB18_114
.LBB18_32:
	s_andn2_b32 vcc_lo, exec_lo, s17
	s_cbranch_vccnz .LBB18_262
	s_branch .LBB18_152
.LBB18_33:
	s_mov_b32 s16, -1
                                        ; implicit-def: $vgpr2
	s_branch .LBB18_160
.LBB18_34:
	s_mov_b32 s18, -1
	s_mov_b32 s0, 0
	s_mov_b32 s17, 0
	s_branch .LBB18_72
.LBB18_35:
	s_mov_b32 s16, -1
                                        ; implicit-def: $vgpr2
	s_branch .LBB18_155
.LBB18_36:
	s_mov_b32 s18, -1
	s_mov_b32 s0, 0
	s_mov_b32 s17, 0
	s_branch .LBB18_55
.LBB18_37:
	s_mov_b32 s16, -1
	s_branch .LBB18_40
.LBB18_38:
	s_mov_b32 s18, -1
	s_mov_b32 s0, 0
	s_mov_b32 s17, 0
	s_branch .LBB18_51
.LBB18_39:
	s_mov_b32 s13, -1
.LBB18_40:
                                        ; implicit-def: $vgpr2
.LBB18_41:
	s_and_b32 vcc_lo, exec_lo, s16
	s_cbranch_vccz .LBB18_154
; %bb.42:
	s_cmp_eq_u32 s0, 44
	s_cbranch_scc0 .LBB18_153
; %bb.43:
	global_load_ubyte v2, v[0:1], off
	s_mov_b32 s13, 0
	s_mov_b32 s7, -1
	s_waitcnt vmcnt(0)
	v_lshlrev_b32_e32 v3, 23, v2
	v_cmp_ne_u32_e32 vcc_lo, 0xff, v2
	v_cndmask_b32_e32 v3, 0x7f800001, v3, vcc_lo
	v_cmp_ne_u32_e32 vcc_lo, 0, v2
	v_cndmask_b32_e32 v2, 0x400000, v3, vcc_lo
	s_branch .LBB18_154
.LBB18_44:
	s_mov_b32 s18, -1
	s_mov_b32 s0, 0
	s_mov_b32 s17, 0
.LBB18_45:
	s_and_b32 vcc_lo, exec_lo, s18
	s_cbranch_vccz .LBB18_50
; %bb.46:
	s_cmp_eq_u32 s16, 44
	s_mov_b32 s0, -1
	s_cbranch_scc0 .LBB18_50
; %bb.47:
	v_bfe_u32 v4, v0, 23, 8
	v_mov_b32_e32 v1, 0xff
	s_mov_b32 s17, exec_lo
	v_cmpx_ne_u32_e32 0xff, v4
	s_cbranch_execz .LBB18_49
; %bb.48:
	v_and_b32_e32 v1, 0x400000, v0
	v_and_or_b32 v4, 0x3fffff, v0, v4
	v_cmp_ne_u32_e32 vcc_lo, 0, v1
	v_cmp_ne_u32_e64 s0, 0, v4
	v_lshrrev_b32_e32 v1, 23, v0
	s_and_b32 s0, vcc_lo, s0
	v_cndmask_b32_e64 v4, 0, 1, s0
	v_add_nc_u32_e32 v1, v1, v4
.LBB18_49:
	s_or_b32 exec_lo, exec_lo, s17
	s_mov_b32 s17, -1
	s_mov_b32 s0, 0
	global_store_byte v[2:3], v1, off
.LBB18_50:
	s_mov_b32 s18, 0
.LBB18_51:
	s_and_b32 vcc_lo, exec_lo, s18
	s_cbranch_vccz .LBB18_54
; %bb.52:
	s_cmp_eq_u32 s16, 29
	s_mov_b32 s0, -1
	s_cbranch_scc0 .LBB18_54
; %bb.53:
	v_trunc_f32_e32 v1, v0
	s_mov_b32 s17, -1
	s_mov_b32 s0, 0
	s_mov_b32 s18, 0
	v_mul_f32_e32 v4, 0x2f800000, v1
	v_floor_f32_e32 v4, v4
	v_fmamk_f32 v1, v4, 0xcf800000, v1
	v_cvt_u32_f32_e32 v5, v4
	v_cvt_u32_f32_e32 v4, v1
	global_store_dwordx2 v[2:3], v[4:5], off
	s_branch .LBB18_55
.LBB18_54:
	s_mov_b32 s18, 0
.LBB18_55:
	s_and_b32 vcc_lo, exec_lo, s18
	s_cbranch_vccz .LBB18_71
; %bb.56:
	s_cmp_lt_i32 s16, 27
	s_mov_b32 s17, -1
	s_cbranch_scc1 .LBB18_62
; %bb.57:
	v_cvt_u32_f32_e32 v1, v0
	s_cmp_gt_i32 s16, 27
	s_cbranch_scc0 .LBB18_59
; %bb.58:
	s_mov_b32 s17, 0
	global_store_dword v[2:3], v1, off
.LBB18_59:
	s_andn2_b32 vcc_lo, exec_lo, s17
	s_cbranch_vccnz .LBB18_61
; %bb.60:
	global_store_short v[2:3], v1, off
.LBB18_61:
	s_mov_b32 s17, 0
.LBB18_62:
	s_andn2_b32 vcc_lo, exec_lo, s17
	s_cbranch_vccnz .LBB18_70
; %bb.63:
	v_and_b32_e32 v1, 0x7fffffff, v0
	v_mov_b32_e32 v4, 0x80
	s_mov_b32 s17, exec_lo
	v_cmpx_gt_u32_e32 0x43800000, v1
	s_cbranch_execz .LBB18_69
; %bb.64:
	v_cmp_lt_u32_e32 vcc_lo, 0x3bffffff, v1
	s_mov_b32 s18, 0
                                        ; implicit-def: $vgpr1
	s_and_saveexec_b32 s19, vcc_lo
	s_xor_b32 s19, exec_lo, s19
	s_cbranch_execz .LBB18_303
; %bb.65:
	v_bfe_u32 v1, v0, 20, 1
	s_mov_b32 s18, exec_lo
	v_add3_u32 v1, v0, v1, 0x487ffff
	v_lshrrev_b32_e32 v1, 20, v1
	s_andn2_saveexec_b32 s19, s19
	s_cbranch_execnz .LBB18_304
.LBB18_66:
	s_or_b32 exec_lo, exec_lo, s19
	v_mov_b32_e32 v4, 0
	s_and_saveexec_b32 s19, s18
.LBB18_67:
	v_lshrrev_b32_e32 v4, 24, v0
	v_and_or_b32 v4, 0x80, v4, v1
.LBB18_68:
	s_or_b32 exec_lo, exec_lo, s19
.LBB18_69:
	s_or_b32 exec_lo, exec_lo, s17
	global_store_byte v[2:3], v4, off
.LBB18_70:
	s_mov_b32 s17, -1
.LBB18_71:
	s_mov_b32 s18, 0
.LBB18_72:
	s_and_b32 vcc_lo, exec_lo, s18
	s_cbranch_vccz .LBB18_113
; %bb.73:
	s_cmp_gt_i32 s16, 22
	s_mov_b32 s18, -1
	s_cbranch_scc0 .LBB18_105
; %bb.74:
	s_cmp_lt_i32 s16, 24
	s_mov_b32 s17, -1
	s_cbranch_scc1 .LBB18_94
; %bb.75:
	s_cmp_gt_i32 s16, 24
	s_cbranch_scc0 .LBB18_83
; %bb.76:
	v_and_b32_e32 v1, 0x7fffffff, v0
	v_mov_b32_e32 v4, 0x80
	s_mov_b32 s17, exec_lo
	v_cmpx_gt_u32_e32 0x47800000, v1
	s_cbranch_execz .LBB18_82
; %bb.77:
	v_cmp_lt_u32_e32 vcc_lo, 0x37ffffff, v1
	s_mov_b32 s18, 0
                                        ; implicit-def: $vgpr1
	s_and_saveexec_b32 s19, vcc_lo
	s_xor_b32 s19, exec_lo, s19
	s_cbranch_execz .LBB18_307
; %bb.78:
	v_bfe_u32 v1, v0, 21, 1
	s_mov_b32 s18, exec_lo
	v_add3_u32 v1, v0, v1, 0x88fffff
	v_lshrrev_b32_e32 v1, 21, v1
	s_andn2_saveexec_b32 s19, s19
	s_cbranch_execnz .LBB18_308
.LBB18_79:
	s_or_b32 exec_lo, exec_lo, s19
	v_mov_b32_e32 v4, 0
	s_and_saveexec_b32 s19, s18
.LBB18_80:
	v_lshrrev_b32_e32 v4, 24, v0
	v_and_or_b32 v4, 0x80, v4, v1
.LBB18_81:
	s_or_b32 exec_lo, exec_lo, s19
.LBB18_82:
	s_or_b32 exec_lo, exec_lo, s17
	s_mov_b32 s17, 0
	global_store_byte v[2:3], v4, off
.LBB18_83:
	s_and_b32 vcc_lo, exec_lo, s17
	s_cbranch_vccz .LBB18_93
; %bb.84:
	v_and_b32_e32 v4, 0x7fffffff, v0
	s_mov_b32 s17, exec_lo
                                        ; implicit-def: $vgpr1
	v_cmpx_gt_u32_e32 0x43f00000, v4
	s_xor_b32 s17, exec_lo, s17
	s_cbranch_execz .LBB18_90
; %bb.85:
	s_mov_b32 s18, exec_lo
                                        ; implicit-def: $vgpr1
	v_cmpx_lt_u32_e32 0x3c7fffff, v4
	s_xor_b32 s18, exec_lo, s18
; %bb.86:
	v_bfe_u32 v1, v0, 20, 1
	v_add3_u32 v1, v0, v1, 0x407ffff
	v_and_b32_e32 v4, 0xff00000, v1
	v_lshrrev_b32_e32 v1, 20, v1
	v_cmp_ne_u32_e32 vcc_lo, 0x7f00000, v4
	v_cndmask_b32_e32 v1, 0x7e, v1, vcc_lo
; %bb.87:
	s_andn2_saveexec_b32 s18, s18
; %bb.88:
	v_add_f32_e64 v1, 0x46800000, |v0|
; %bb.89:
	s_or_b32 exec_lo, exec_lo, s18
                                        ; implicit-def: $vgpr4
.LBB18_90:
	s_andn2_saveexec_b32 s17, s17
; %bb.91:
	v_mov_b32_e32 v1, 0x7f
	v_cmp_lt_u32_e32 vcc_lo, 0x7f800000, v4
	v_cndmask_b32_e32 v1, 0x7e, v1, vcc_lo
; %bb.92:
	s_or_b32 exec_lo, exec_lo, s17
	v_lshrrev_b32_e32 v4, 24, v0
	v_and_or_b32 v1, 0x80, v4, v1
	global_store_byte v[2:3], v1, off
.LBB18_93:
	s_mov_b32 s17, 0
.LBB18_94:
	s_andn2_b32 vcc_lo, exec_lo, s17
	s_cbranch_vccnz .LBB18_104
; %bb.95:
	v_and_b32_e32 v4, 0x7fffffff, v0
	s_mov_b32 s17, exec_lo
                                        ; implicit-def: $vgpr1
	v_cmpx_gt_u32_e32 0x47800000, v4
	s_xor_b32 s17, exec_lo, s17
	s_cbranch_execz .LBB18_101
; %bb.96:
	s_mov_b32 s18, exec_lo
                                        ; implicit-def: $vgpr1
	v_cmpx_lt_u32_e32 0x387fffff, v4
	s_xor_b32 s18, exec_lo, s18
; %bb.97:
	v_bfe_u32 v1, v0, 21, 1
	v_add3_u32 v1, v0, v1, 0x80fffff
	v_lshrrev_b32_e32 v1, 21, v1
; %bb.98:
	s_andn2_saveexec_b32 s18, s18
; %bb.99:
	v_add_f32_e64 v1, 0x43000000, |v0|
; %bb.100:
	s_or_b32 exec_lo, exec_lo, s18
                                        ; implicit-def: $vgpr4
.LBB18_101:
	s_andn2_saveexec_b32 s17, s17
; %bb.102:
	v_mov_b32_e32 v1, 0x7f
	v_cmp_lt_u32_e32 vcc_lo, 0x7f800000, v4
	v_cndmask_b32_e32 v1, 0x7c, v1, vcc_lo
; %bb.103:
	s_or_b32 exec_lo, exec_lo, s17
	v_lshrrev_b32_e32 v4, 24, v0
	v_and_or_b32 v1, 0x80, v4, v1
	global_store_byte v[2:3], v1, off
.LBB18_104:
	s_mov_b32 s18, 0
	s_mov_b32 s17, -1
.LBB18_105:
	s_andn2_b32 vcc_lo, exec_lo, s18
	s_cbranch_vccnz .LBB18_113
; %bb.106:
	s_cmp_gt_i32 s16, 14
	s_mov_b32 s18, -1
	s_cbranch_scc0 .LBB18_110
; %bb.107:
	s_cmp_eq_u32 s16, 15
	s_mov_b32 s0, -1
	s_cbranch_scc0 .LBB18_109
; %bb.108:
	v_bfe_u32 v1, v0, 16, 1
	v_cmp_o_f32_e32 vcc_lo, v0, v0
	v_mov_b32_e32 v4, 0x7fc0
	s_mov_b32 s17, -1
	s_mov_b32 s0, 0
	v_add3_u32 v1, v0, v1, 0x7fff
	v_cndmask_b32_sdwa v1, v4, v1, vcc_lo dst_sel:DWORD dst_unused:UNUSED_PAD src0_sel:DWORD src1_sel:WORD_1
	global_store_short v[2:3], v1, off
.LBB18_109:
	s_mov_b32 s18, 0
.LBB18_110:
	s_and_b32 vcc_lo, exec_lo, s18
	s_cbranch_vccz .LBB18_113
; %bb.111:
	s_cmp_eq_u32 s16, 11
	s_mov_b32 s0, -1
	s_cbranch_scc0 .LBB18_113
; %bb.112:
	v_cmp_neq_f32_e32 vcc_lo, 0, v0
	s_mov_b32 s0, 0
	s_mov_b32 s17, -1
	v_cndmask_b32_e64 v1, 0, 1, vcc_lo
	global_store_byte v[2:3], v1, off
.LBB18_113:
	s_branch .LBB18_32
.LBB18_114:
	s_and_b32 s7, 0xffff, s7
	s_mov_b32 s16, -1
	s_cmp_lt_i32 s7, 5
	s_cbranch_scc1 .LBB18_135
; %bb.115:
	s_cmp_lt_i32 s7, 8
	s_cbranch_scc1 .LBB18_125
; %bb.116:
	;; [unrolled: 3-line block ×3, first 2 shown]
	s_cmp_gt_i32 s7, 9
	s_cbranch_scc0 .LBB18_119
; %bb.118:
	v_cvt_f64_f32_e32 v[8:9], v0
	v_mov_b32_e32 v10, 0
	s_mov_b32 s16, 0
	v_mov_b32_e32 v11, v10
	global_store_dwordx4 v[2:3], v[8:11], off
.LBB18_119:
	s_andn2_b32 vcc_lo, exec_lo, s16
	s_cbranch_vccnz .LBB18_121
; %bb.120:
	v_mov_b32_e32 v1, 0
	global_store_dwordx2 v[2:3], v[0:1], off
.LBB18_121:
	s_mov_b32 s16, 0
.LBB18_122:
	s_andn2_b32 vcc_lo, exec_lo, s16
	s_cbranch_vccnz .LBB18_124
; %bb.123:
	v_cvt_f16_f32_e32 v1, v0
	v_and_b32_e32 v1, 0xffff, v1
	global_store_dword v[2:3], v1, off
.LBB18_124:
	s_mov_b32 s16, 0
.LBB18_125:
	s_andn2_b32 vcc_lo, exec_lo, s16
	s_cbranch_vccnz .LBB18_134
; %bb.126:
	s_cmp_lt_i32 s7, 6
	s_mov_b32 s16, -1
	s_cbranch_scc1 .LBB18_132
; %bb.127:
	s_cmp_gt_i32 s7, 6
	s_cbranch_scc0 .LBB18_129
; %bb.128:
	v_cvt_f64_f32_e32 v[4:5], v0
	s_mov_b32 s16, 0
	global_store_dwordx2 v[2:3], v[4:5], off
.LBB18_129:
	s_andn2_b32 vcc_lo, exec_lo, s16
	s_cbranch_vccnz .LBB18_131
; %bb.130:
	global_store_dword v[2:3], v0, off
.LBB18_131:
	s_mov_b32 s16, 0
.LBB18_132:
	s_andn2_b32 vcc_lo, exec_lo, s16
	s_cbranch_vccnz .LBB18_134
; %bb.133:
	v_cvt_f16_f32_e32 v1, v0
	global_store_short v[2:3], v1, off
.LBB18_134:
	s_mov_b32 s16, 0
.LBB18_135:
	s_andn2_b32 vcc_lo, exec_lo, s16
	s_cbranch_vccnz .LBB18_151
; %bb.136:
	s_cmp_lt_i32 s7, 2
	s_mov_b32 s16, -1
	s_cbranch_scc1 .LBB18_146
; %bb.137:
	s_cmp_lt_i32 s7, 3
	s_cbranch_scc1 .LBB18_143
; %bb.138:
	s_cmp_gt_i32 s7, 3
	s_cbranch_scc0 .LBB18_140
; %bb.139:
	v_trunc_f32_e32 v1, v0
	s_mov_b32 s16, 0
	v_mul_f32_e64 v4, 0x2f800000, |v1|
	v_floor_f32_e32 v4, v4
	v_fma_f32 v5, 0xcf800000, v4, |v1|
	v_ashrrev_i32_e32 v1, 31, v1
	v_cvt_u32_f32_e32 v4, v4
	v_cvt_u32_f32_e32 v5, v5
	v_xor_b32_e32 v6, v4, v1
	v_xor_b32_e32 v5, v5, v1
	v_sub_co_u32 v4, vcc_lo, v5, v1
	v_sub_co_ci_u32_e64 v5, null, v6, v1, vcc_lo
	global_store_dwordx2 v[2:3], v[4:5], off
.LBB18_140:
	s_andn2_b32 vcc_lo, exec_lo, s16
	s_cbranch_vccnz .LBB18_142
; %bb.141:
	v_cvt_i32_f32_e32 v1, v0
	global_store_dword v[2:3], v1, off
.LBB18_142:
	s_mov_b32 s16, 0
.LBB18_143:
	s_andn2_b32 vcc_lo, exec_lo, s16
	s_cbranch_vccnz .LBB18_145
; %bb.144:
	v_cvt_i32_f32_e32 v1, v0
	global_store_short v[2:3], v1, off
.LBB18_145:
	s_mov_b32 s16, 0
.LBB18_146:
	s_andn2_b32 vcc_lo, exec_lo, s16
	s_cbranch_vccnz .LBB18_151
; %bb.147:
	s_cmp_gt_i32 s7, 0
	s_mov_b32 s7, -1
	s_cbranch_scc0 .LBB18_149
; %bb.148:
	v_cvt_i32_f32_e32 v1, v0
	s_mov_b32 s7, 0
	global_store_byte v[2:3], v1, off
.LBB18_149:
	s_andn2_b32 vcc_lo, exec_lo, s7
	s_cbranch_vccnz .LBB18_151
; %bb.150:
	v_trunc_f32_e32 v0, v0
	v_mul_f32_e64 v1, 0x2f800000, |v0|
	v_floor_f32_e32 v1, v1
	v_fma_f32 v1, 0xcf800000, v1, |v0|
	v_ashrrev_i32_e32 v0, 31, v0
	v_cvt_u32_f32_e32 v1, v1
	v_xor_b32_e32 v1, v1, v0
	v_sub_nc_u32_e32 v0, v1, v0
	global_store_byte v[2:3], v0, off
.LBB18_151:
.LBB18_152:
	v_add_nc_u32_e32 v7, 0x80, v7
	s_mov_b32 s16, -1
	s_branch .LBB18_263
.LBB18_153:
	s_mov_b32 s13, -1
                                        ; implicit-def: $vgpr2
.LBB18_154:
	s_mov_b32 s16, 0
.LBB18_155:
	s_and_b32 vcc_lo, exec_lo, s16
	s_cbranch_vccz .LBB18_159
; %bb.156:
	s_cmp_eq_u32 s0, 29
	s_cbranch_scc0 .LBB18_158
; %bb.157:
	global_load_dwordx2 v[2:3], v[0:1], off
	s_mov_b32 s7, -1
	s_mov_b32 s13, 0
	s_mov_b32 s16, 0
	s_waitcnt vmcnt(0)
	v_ffbh_u32_e32 v4, v3
	v_min_u32_e32 v4, 32, v4
	v_lshlrev_b64 v[2:3], v4, v[2:3]
	v_min_u32_e32 v2, 1, v2
	v_or_b32_e32 v2, v3, v2
	v_sub_nc_u32_e32 v3, 32, v4
	v_cvt_f32_u32_e32 v2, v2
	v_ldexp_f32 v2, v2, v3
	s_branch .LBB18_160
.LBB18_158:
	s_mov_b32 s13, -1
                                        ; implicit-def: $vgpr2
.LBB18_159:
	s_mov_b32 s16, 0
.LBB18_160:
	s_and_b32 vcc_lo, exec_lo, s16
	s_cbranch_vccz .LBB18_178
; %bb.161:
	s_cmp_lt_i32 s0, 27
	s_cbranch_scc1 .LBB18_164
; %bb.162:
	s_cmp_gt_i32 s0, 27
	s_cbranch_scc0 .LBB18_165
; %bb.163:
	global_load_dword v2, v[0:1], off
	s_mov_b32 s7, 0
	s_waitcnt vmcnt(0)
	v_cvt_f32_u32_e32 v2, v2
	s_branch .LBB18_166
.LBB18_164:
	s_mov_b32 s7, -1
                                        ; implicit-def: $vgpr2
	s_branch .LBB18_169
.LBB18_165:
	s_mov_b32 s7, -1
                                        ; implicit-def: $vgpr2
.LBB18_166:
	s_andn2_b32 vcc_lo, exec_lo, s7
	s_cbranch_vccnz .LBB18_168
; %bb.167:
	global_load_ushort v2, v[0:1], off
	s_waitcnt vmcnt(0)
	v_cvt_f32_u32_e32 v2, v2
.LBB18_168:
	s_mov_b32 s7, 0
.LBB18_169:
	s_andn2_b32 vcc_lo, exec_lo, s7
	s_cbranch_vccnz .LBB18_177
; %bb.170:
	global_load_ubyte v3, v[0:1], off
	s_mov_b32 s7, 0
	s_mov_b32 s16, exec_lo
	s_waitcnt vmcnt(0)
	v_cmpx_lt_i16_e32 0x7f, v3
	s_xor_b32 s16, exec_lo, s16
	s_cbranch_execz .LBB18_190
; %bb.171:
	s_mov_b32 s7, -1
	s_mov_b32 s17, exec_lo
	v_cmpx_eq_u16_e32 0x80, v3
; %bb.172:
	s_xor_b32 s7, exec_lo, -1
; %bb.173:
	s_or_b32 exec_lo, exec_lo, s17
	s_and_b32 s7, s7, exec_lo
	s_or_saveexec_b32 s16, s16
	v_mov_b32_e32 v2, 0x7f800001
	s_xor_b32 exec_lo, exec_lo, s16
	s_cbranch_execnz .LBB18_191
.LBB18_174:
	s_or_b32 exec_lo, exec_lo, s16
	s_and_saveexec_b32 s16, s7
	s_cbranch_execz .LBB18_176
.LBB18_175:
	v_and_b32_e32 v2, 0xffff, v3
	v_lshlrev_b32_e32 v3, 24, v3
	v_and_b32_e32 v4, 7, v2
	v_bfe_u32 v8, v2, 3, 4
	v_and_b32_e32 v3, 0x80000000, v3
	v_ffbh_u32_e32 v5, v4
	v_cmp_eq_u32_e32 vcc_lo, 0, v8
	v_min_u32_e32 v5, 32, v5
	v_subrev_nc_u32_e32 v6, 28, v5
	v_sub_nc_u32_e32 v5, 29, v5
	v_lshlrev_b32_e32 v2, v6, v2
	v_cndmask_b32_e32 v5, v8, v5, vcc_lo
	v_and_b32_e32 v2, 7, v2
	v_cndmask_b32_e32 v2, v4, v2, vcc_lo
	v_lshl_add_u32 v4, v5, 23, 0x3b800000
	v_lshlrev_b32_e32 v2, 20, v2
	v_or3_b32 v2, v3, v4, v2
.LBB18_176:
	s_or_b32 exec_lo, exec_lo, s16
.LBB18_177:
	s_mov_b32 s7, -1
.LBB18_178:
	s_branch .LBB18_213
.LBB18_179:
	s_cmp_gt_i32 s0, 22
	s_cbranch_scc0 .LBB18_189
; %bb.180:
	s_cmp_lt_i32 s0, 24
	s_cbranch_scc1 .LBB18_192
; %bb.181:
	s_cmp_gt_i32 s0, 24
	s_cbranch_scc0 .LBB18_193
; %bb.182:
	global_load_ubyte v3, v[0:1], off
	s_mov_b32 s7, 0
	s_mov_b32 s16, exec_lo
	s_waitcnt vmcnt(0)
	v_cmpx_lt_i16_e32 0x7f, v3
	s_xor_b32 s16, exec_lo, s16
	s_cbranch_execz .LBB18_205
; %bb.183:
	s_mov_b32 s7, -1
	s_mov_b32 s17, exec_lo
	v_cmpx_eq_u16_e32 0x80, v3
; %bb.184:
	s_xor_b32 s7, exec_lo, -1
; %bb.185:
	s_or_b32 exec_lo, exec_lo, s17
	s_and_b32 s7, s7, exec_lo
	s_or_saveexec_b32 s16, s16
	v_mov_b32_e32 v2, 0x7f800001
	s_xor_b32 exec_lo, exec_lo, s16
	s_cbranch_execnz .LBB18_206
.LBB18_186:
	s_or_b32 exec_lo, exec_lo, s16
	s_and_saveexec_b32 s16, s7
	s_cbranch_execz .LBB18_188
.LBB18_187:
	v_and_b32_e32 v2, 0xffff, v3
	v_lshlrev_b32_e32 v3, 24, v3
	v_and_b32_e32 v4, 3, v2
	v_bfe_u32 v8, v2, 2, 5
	v_and_b32_e32 v3, 0x80000000, v3
	v_ffbh_u32_e32 v5, v4
	v_cmp_eq_u32_e32 vcc_lo, 0, v8
	v_min_u32_e32 v5, 32, v5
	v_subrev_nc_u32_e32 v6, 29, v5
	v_sub_nc_u32_e32 v5, 30, v5
	v_lshlrev_b32_e32 v2, v6, v2
	v_cndmask_b32_e32 v5, v8, v5, vcc_lo
	v_and_b32_e32 v2, 3, v2
	v_cndmask_b32_e32 v2, v4, v2, vcc_lo
	v_lshl_add_u32 v4, v5, 23, 0x37800000
	v_lshlrev_b32_e32 v2, 21, v2
	v_or3_b32 v2, v3, v4, v2
.LBB18_188:
	s_or_b32 exec_lo, exec_lo, s16
	s_mov_b32 s7, 0
	s_branch .LBB18_194
.LBB18_189:
	s_mov_b32 s16, -1
                                        ; implicit-def: $vgpr2
	s_branch .LBB18_200
.LBB18_190:
	s_or_saveexec_b32 s16, s16
	v_mov_b32_e32 v2, 0x7f800001
	s_xor_b32 exec_lo, exec_lo, s16
	s_cbranch_execz .LBB18_174
.LBB18_191:
	v_cmp_ne_u16_e32 vcc_lo, 0, v3
	v_mov_b32_e32 v2, 0
	s_andn2_b32 s7, s7, exec_lo
	s_and_b32 s17, vcc_lo, exec_lo
	s_or_b32 s7, s7, s17
	s_or_b32 exec_lo, exec_lo, s16
	s_and_saveexec_b32 s16, s7
	s_cbranch_execnz .LBB18_175
	s_branch .LBB18_176
.LBB18_192:
	s_mov_b32 s7, -1
                                        ; implicit-def: $vgpr2
	s_branch .LBB18_197
.LBB18_193:
	s_mov_b32 s7, -1
                                        ; implicit-def: $vgpr2
.LBB18_194:
	s_and_b32 vcc_lo, exec_lo, s7
	s_cbranch_vccz .LBB18_196
; %bb.195:
	global_load_ubyte v2, v[0:1], off
	s_waitcnt vmcnt(0)
	v_lshlrev_b32_e32 v2, 24, v2
	v_and_b32_e32 v3, 0x7f000000, v2
	v_ffbh_u32_e32 v4, v3
	v_add_nc_u32_e32 v6, 0x1000000, v3
	v_cmp_ne_u32_e32 vcc_lo, 0, v3
	v_min_u32_e32 v4, 32, v4
	v_sub_nc_u32_e64 v4, v4, 4 clamp
	v_lshlrev_b32_e32 v5, v4, v3
	v_lshlrev_b32_e32 v4, 23, v4
	v_lshrrev_b32_e32 v5, 4, v5
	v_sub_nc_u32_e32 v4, v5, v4
	v_ashrrev_i32_e32 v5, 8, v6
	v_add_nc_u32_e32 v4, 0x3c000000, v4
	v_and_or_b32 v4, 0x7f800000, v5, v4
	v_cndmask_b32_e32 v3, 0, v4, vcc_lo
	v_and_or_b32 v2, 0x80000000, v2, v3
.LBB18_196:
	s_mov_b32 s7, 0
.LBB18_197:
	s_andn2_b32 vcc_lo, exec_lo, s7
	s_cbranch_vccnz .LBB18_199
; %bb.198:
	global_load_ubyte v2, v[0:1], off
	s_waitcnt vmcnt(0)
	v_lshlrev_b32_e32 v3, 25, v2
	v_lshlrev_b16 v2, 8, v2
	v_lshrrev_b32_e32 v4, 4, v3
	v_and_or_b32 v5, 0x7f00, v2, 0.5
	v_cmp_gt_u32_e32 vcc_lo, 0x8000000, v3
	v_bfe_i32 v2, v2, 0, 16
	v_or_b32_e32 v4, 0x70000000, v4
	v_add_f32_e32 v5, -0.5, v5
	v_mul_f32_e32 v4, 0x7800000, v4
	v_cndmask_b32_e32 v3, v4, v5, vcc_lo
	v_and_or_b32 v2, 0x80000000, v2, v3
.LBB18_199:
	s_mov_b32 s16, 0
	s_mov_b32 s7, -1
.LBB18_200:
	s_andn2_b32 vcc_lo, exec_lo, s16
	s_cbranch_vccnz .LBB18_213
; %bb.201:
	s_cmp_gt_i32 s0, 14
	s_cbranch_scc0 .LBB18_204
; %bb.202:
	s_cmp_eq_u32 s0, 15
	s_cbranch_scc0 .LBB18_207
; %bb.203:
	global_load_ushort v2, v[0:1], off
	s_mov_b32 s7, -1
	s_mov_b32 s13, 0
	s_waitcnt vmcnt(0)
	v_lshlrev_b32_e32 v2, 16, v2
	s_branch .LBB18_208
.LBB18_204:
	s_mov_b32 s16, -1
                                        ; implicit-def: $vgpr2
	s_branch .LBB18_209
.LBB18_205:
	s_or_saveexec_b32 s16, s16
	v_mov_b32_e32 v2, 0x7f800001
	s_xor_b32 exec_lo, exec_lo, s16
	s_cbranch_execz .LBB18_186
.LBB18_206:
	v_cmp_ne_u16_e32 vcc_lo, 0, v3
	v_mov_b32_e32 v2, 0
	s_andn2_b32 s7, s7, exec_lo
	s_and_b32 s17, vcc_lo, exec_lo
	s_or_b32 s7, s7, s17
	s_or_b32 exec_lo, exec_lo, s16
	s_and_saveexec_b32 s16, s7
	s_cbranch_execnz .LBB18_187
	s_branch .LBB18_188
.LBB18_207:
	s_mov_b32 s13, -1
                                        ; implicit-def: $vgpr2
.LBB18_208:
	s_mov_b32 s16, 0
.LBB18_209:
	s_and_b32 vcc_lo, exec_lo, s16
	s_cbranch_vccz .LBB18_213
; %bb.210:
	s_cmp_eq_u32 s0, 11
	s_cbranch_scc0 .LBB18_212
; %bb.211:
	global_load_ubyte v2, v[0:1], off
	s_mov_b32 s13, 0
	s_mov_b32 s7, -1
	s_waitcnt vmcnt(0)
	v_cmp_ne_u16_e32 vcc_lo, 0, v2
	v_cndmask_b32_e64 v2, 0, 1.0, vcc_lo
	s_branch .LBB18_213
.LBB18_212:
	s_mov_b32 s13, -1
                                        ; implicit-def: $vgpr2
.LBB18_213:
	s_branch .LBB18_10
.LBB18_214:
	s_cmp_lt_i32 s0, 5
	s_cbranch_scc1 .LBB18_219
; %bb.215:
	s_cmp_lt_i32 s0, 8
	s_cbranch_scc1 .LBB18_220
; %bb.216:
	;; [unrolled: 3-line block ×3, first 2 shown]
	s_cmp_gt_i32 s0, 9
	s_cbranch_scc0 .LBB18_222
; %bb.218:
	global_load_dwordx2 v[2:3], v[0:1], off
	s_mov_b32 s7, 0
	s_waitcnt vmcnt(0)
	v_cvt_f32_f64_e32 v2, v[2:3]
	s_branch .LBB18_223
.LBB18_219:
                                        ; implicit-def: $vgpr2
	s_branch .LBB18_241
.LBB18_220:
	s_mov_b32 s7, -1
                                        ; implicit-def: $vgpr2
	s_branch .LBB18_229
.LBB18_221:
	s_mov_b32 s7, -1
                                        ; implicit-def: $vgpr2
	s_branch .LBB18_226
.LBB18_222:
	s_mov_b32 s7, -1
                                        ; implicit-def: $vgpr2
.LBB18_223:
	s_andn2_b32 vcc_lo, exec_lo, s7
	s_cbranch_vccnz .LBB18_225
; %bb.224:
	global_load_dword v2, v[0:1], off
.LBB18_225:
	s_mov_b32 s7, 0
.LBB18_226:
	s_andn2_b32 vcc_lo, exec_lo, s7
	s_cbranch_vccnz .LBB18_228
; %bb.227:
	global_load_dword v2, v[0:1], off
	s_waitcnt vmcnt(0)
	v_cvt_f32_f16_e32 v2, v2
.LBB18_228:
	s_mov_b32 s7, 0
.LBB18_229:
	s_andn2_b32 vcc_lo, exec_lo, s7
	s_cbranch_vccnz .LBB18_240
; %bb.230:
	s_cmp_lt_i32 s0, 6
	s_cbranch_scc1 .LBB18_233
; %bb.231:
	s_cmp_gt_i32 s0, 6
	s_cbranch_scc0 .LBB18_234
; %bb.232:
	global_load_dwordx2 v[2:3], v[0:1], off
	s_mov_b32 s7, 0
	s_waitcnt vmcnt(0)
	v_cvt_f32_f64_e32 v2, v[2:3]
	s_branch .LBB18_235
.LBB18_233:
	s_mov_b32 s7, -1
                                        ; implicit-def: $vgpr2
	s_branch .LBB18_238
.LBB18_234:
	s_mov_b32 s7, -1
                                        ; implicit-def: $vgpr2
.LBB18_235:
	s_andn2_b32 vcc_lo, exec_lo, s7
	s_cbranch_vccnz .LBB18_237
; %bb.236:
	global_load_dword v2, v[0:1], off
.LBB18_237:
	s_mov_b32 s7, 0
.LBB18_238:
	s_andn2_b32 vcc_lo, exec_lo, s7
	s_cbranch_vccnz .LBB18_240
; %bb.239:
	global_load_ushort v2, v[0:1], off
	s_waitcnt vmcnt(0)
	v_cvt_f32_f16_e32 v2, v2
.LBB18_240:
	s_cbranch_execnz .LBB18_260
.LBB18_241:
	s_cmp_lt_i32 s0, 2
	s_cbranch_scc1 .LBB18_245
; %bb.242:
	s_cmp_lt_i32 s0, 3
	s_cbranch_scc1 .LBB18_246
; %bb.243:
	s_cmp_gt_i32 s0, 3
	s_cbranch_scc0 .LBB18_247
; %bb.244:
	global_load_dwordx2 v[2:3], v[0:1], off
	s_mov_b32 s7, 0
	s_waitcnt vmcnt(0)
	v_xor_b32_e32 v4, v2, v3
	v_ffbh_i32_e32 v5, v3
	v_ashrrev_i32_e32 v4, 31, v4
	v_add_nc_u32_e32 v5, -1, v5
	v_add_nc_u32_e32 v4, 32, v4
	v_min_u32_e32 v4, v5, v4
	v_lshlrev_b64 v[2:3], v4, v[2:3]
	v_min_u32_e32 v2, 1, v2
	v_or_b32_e32 v2, v3, v2
	v_sub_nc_u32_e32 v3, 32, v4
	v_cvt_f32_i32_e32 v2, v2
	v_ldexp_f32 v2, v2, v3
	s_branch .LBB18_248
.LBB18_245:
	s_mov_b32 s7, -1
                                        ; implicit-def: $vgpr2
	s_branch .LBB18_254
.LBB18_246:
	s_mov_b32 s7, -1
                                        ; implicit-def: $vgpr2
	s_branch .LBB18_251
.LBB18_247:
	s_mov_b32 s7, -1
                                        ; implicit-def: $vgpr2
.LBB18_248:
	s_andn2_b32 vcc_lo, exec_lo, s7
	s_cbranch_vccnz .LBB18_250
; %bb.249:
	global_load_dword v2, v[0:1], off
	s_waitcnt vmcnt(0)
	v_cvt_f32_i32_e32 v2, v2
.LBB18_250:
	s_mov_b32 s7, 0
.LBB18_251:
	s_andn2_b32 vcc_lo, exec_lo, s7
	s_cbranch_vccnz .LBB18_253
; %bb.252:
	global_load_sshort v2, v[0:1], off
	s_waitcnt vmcnt(0)
	v_cvt_f32_i32_e32 v2, v2
.LBB18_253:
	s_mov_b32 s7, 0
.LBB18_254:
	s_andn2_b32 vcc_lo, exec_lo, s7
	s_cbranch_vccnz .LBB18_260
; %bb.255:
	s_cmp_gt_i32 s0, 0
	s_mov_b32 s0, 0
	s_cbranch_scc0 .LBB18_257
; %bb.256:
	global_load_sbyte v2, v[0:1], off
	s_waitcnt vmcnt(0)
	v_cvt_f32_i32_e32 v2, v2
	s_branch .LBB18_258
.LBB18_257:
	s_mov_b32 s0, -1
                                        ; implicit-def: $vgpr2
.LBB18_258:
	s_andn2_b32 vcc_lo, exec_lo, s0
	s_cbranch_vccnz .LBB18_260
; %bb.259:
	global_load_ubyte v0, v[0:1], off
	s_waitcnt vmcnt(0)
	v_cvt_f32_ubyte0_e32 v2, v0
.LBB18_260:
	s_branch .LBB18_11
.LBB18_261:
	s_mov_b32 s0, 0
.LBB18_262:
	s_mov_b32 s16, 0
                                        ; implicit-def: $vgpr7
.LBB18_263:
	s_and_b32 s7, s0, exec_lo
	s_and_b32 s13, s13, exec_lo
	s_orn2_b32 s17, s16, exec_lo
.LBB18_264:
	s_or_b32 exec_lo, exec_lo, s14
	s_mov_b32 s16, 0
	s_mov_b32 s0, 0
                                        ; implicit-def: $vgpr0_vgpr1
                                        ; implicit-def: $vgpr4
	s_and_saveexec_b32 s14, s17
	s_cbranch_execz .LBB18_273
; %bb.265:
	s_mov_b32 s0, -1
	s_mov_b32 s15, s13
	s_mov_b32 s16, s7
	s_mov_b32 s17, exec_lo
	v_cmpx_gt_i32_e64 s12, v7
	s_cbranch_execz .LBB18_539
; %bb.266:
	v_mul_lo_u32 v0, v7, s3
	s_and_b32 s0, 0xffff, s5
	s_cmp_lt_i32 s0, 11
	v_ashrrev_i32_e32 v1, 31, v0
	v_add_co_u32 v0, vcc_lo, s10, v0
	v_add_co_ci_u32_e64 v1, null, s11, v1, vcc_lo
	s_cbranch_scc1 .LBB18_276
; %bb.267:
	s_cmp_gt_i32 s0, 25
	s_cbranch_scc0 .LBB18_297
; %bb.268:
	s_cmp_gt_i32 s0, 28
	s_cbranch_scc0 .LBB18_299
	;; [unrolled: 3-line block ×4, first 2 shown]
; %bb.271:
	s_cmp_eq_u32 s0, 46
	s_mov_b32 s18, 0
	s_cbranch_scc0 .LBB18_309
; %bb.272:
	global_load_dword v2, v[0:1], off
	s_mov_b32 s16, -1
	s_mov_b32 s15, 0
	s_waitcnt vmcnt(0)
	v_lshlrev_b32_e32 v2, 16, v2
	s_branch .LBB18_311
.LBB18_273:
	s_or_b32 exec_lo, exec_lo, s14
	s_mov_b32 s12, 0
	s_and_saveexec_b32 s14, s13
	s_cbranch_execnz .LBB18_899
.LBB18_274:
	s_or_b32 exec_lo, exec_lo, s14
	s_and_saveexec_b32 s13, s15
	s_xor_b32 s13, exec_lo, s13
	s_cbranch_execz .LBB18_900
.LBB18_275:
	global_load_ubyte v2, v[0:1], off
	s_or_b32 s0, s0, exec_lo
	s_waitcnt vmcnt(0)
	v_cmp_ne_u16_e32 vcc_lo, 0, v2
	v_cndmask_b32_e64 v4, 0, 1.0, vcc_lo
	s_or_b32 exec_lo, exec_lo, s13
	s_and_saveexec_b32 s13, s16
	s_cbranch_execz .LBB18_946
	s_branch .LBB18_901
.LBB18_276:
	s_mov_b32 s16, 0
	s_mov_b32 s15, s13
                                        ; implicit-def: $vgpr2
	s_cbranch_execnz .LBB18_488
.LBB18_277:
	s_andn2_b32 vcc_lo, exec_lo, s16
	s_cbranch_vccnz .LBB18_536
.LBB18_278:
	s_waitcnt vmcnt(0)
	v_mul_f32_e64 v1, 0x3fb8aa3b, |v2|
	s_mov_b32 s16, exec_lo
                                        ; implicit-def: $vgpr0
	v_cmpx_ge_f32_e64 0x41000000, |v2|
	s_xor_b32 s16, exec_lo, s16
	s_cbranch_execz .LBB18_284
; %bb.279:
	v_fma_f32 v0, |v2|, 0.5, -2.0
	s_mov_b32 s0, 0x224cf950
	v_rndne_f32_e32 v5, v1
	v_fma_f32 v6, 0x3fb8aa3b, |v2|, -v1
	v_cmp_ngt_f32_e64 vcc_lo, 0xc2ce8ed0, |v2|
	v_fmaak_f32 v3, s0, v0, 0xa3c2be86
	v_cmp_nlt_f32_e64 s0, 0x42b17218, |v2|
	v_sub_f32_e32 v1, v1, v5
	v_fma_f32 v6, 0x32a5705f, |v2|, v6
	v_fmaak_f32 v4, v0, v3, 0xa24cf950
	v_add_f32_e32 v1, v1, v6
	v_add_f32_e32 v4, 0x25331f1f, v4
	v_exp_f32_e32 v1, v1
	v_fma_f32 v3, v0, v4, -v3
	v_add_f32_e32 v3, 0xa69f5554, v3
	v_fma_f32 v4, v0, v3, -v4
	v_add_f32_e32 v4, 0x2808ebf8, v4
	;; [unrolled: 2-line block ×25, first 2 shown]
	v_fma_f32 v0, v0, v3, -v4
	v_cvt_i32_f32_e32 v3, v5
	v_add_f32_e32 v0, 0x3e81531c, v0
	v_ldexp_f32 v1, v1, v3
	v_sub_f32_e32 v0, v0, v4
	v_cndmask_b32_e32 v3, 0, v1, vcc_lo
	v_cmp_ngt_f32_e32 vcc_lo, 0, v2
	v_mul_f32_e32 v0, 0.5, v0
	v_mul_f32_e64 v1, |v2|, v0
	v_cndmask_b32_e64 v2, 0x7f800000, v3, s0
                                        ; implicit-def: $vgpr0
	s_and_saveexec_b32 s0, vcc_lo
	s_xor_b32 s0, exec_lo, s0
; %bb.280:
	v_mul_f32_e32 v0, v2, v1
                                        ; implicit-def: $vgpr2
                                        ; implicit-def: $vgpr1
; %bb.281:
	s_andn2_saveexec_b32 s0, s0
; %bb.282:
	v_mul_f32_e64 v0, v1, -v2
; %bb.283:
	s_or_b32 exec_lo, exec_lo, s0
                                        ; implicit-def: $vgpr2
                                        ; implicit-def: $vgpr1
.LBB18_284:
	s_andn2_saveexec_b32 s16, s16
	s_cbranch_execz .LBB18_290
; %bb.285:
	v_and_b32_e32 v0, 0x7fffffff, v2
	s_mov_b32 s0, 0x230aab6e
	v_div_scale_f32 v3, null, v0, v0, 0x42000000
	v_div_scale_f32 v0, vcc_lo, 0x42000000, v0, 0x42000000
	v_rcp_f32_e32 v4, v3
	v_fma_f32 v5, -v3, v4, 1.0
	v_fmac_f32_e32 v4, v5, v4
	v_mul_f32_e32 v5, v0, v4
	v_fma_f32 v6, -v3, v5, v0
	v_fmac_f32_e32 v5, v6, v4
	v_fma_f32 v6, 0x3fb8aa3b, |v2|, -v1
	v_fma_f32 v0, -v3, v5, v0
	v_fma_f32 v6, 0x32a5705f, |v2|, v6
	v_div_fmas_f32 v0, v0, v4, v5
	v_rndne_f32_e32 v5, v1
	v_cmp_ngt_f32_e64 vcc_lo, 0xc2ce8ed0, |v2|
	v_div_fixup_f32 v0, v0, |v2|, 0x42000000
	v_sub_f32_e32 v1, v1, v5
	v_cvt_i32_f32_e32 v5, v5
	v_add_f32_e32 v0, -2.0, v0
	v_add_f32_e32 v1, v1, v6
	v_fmaak_f32 v3, s0, v0, 0x22a2dc57
	v_exp_f32_e32 v1, v1
	v_cmp_nlt_f32_e64 s0, 0x42b17218, |v2|
	v_fmaak_f32 v4, v0, v3, 0xa30aab6e
	v_add_f32_e32 v4, 0xa456751e, v4
	v_ldexp_f32 v1, v1, v5
	v_fma_f32 v3, v0, v4, -v3
	v_cndmask_b32_e32 v1, 0, v1, vcc_lo
	v_add_f32_e32 v3, 0xa4140365, v3
	v_cndmask_b32_e64 v1, 0x7f800000, v1, s0
	s_mov_b32 s0, exec_lo
	v_fma_f32 v4, v0, v3, -v4
	v_add_f32_e32 v4, 0x25aac8b0, v4
	v_fma_f32 v3, v0, v4, -v3
	v_add_f32_e32 v3, 0x25beb473, v3
	;; [unrolled: 2-line block ×21, first 2 shown]
	v_sub_f32_e32 v3, v0, v4
	v_mul_f32_e64 v4, 0x4f800000, |v2|
                                        ; implicit-def: $vgpr0
	v_cmpx_ngt_f32_e32 0, v2
	s_xor_b32 s18, exec_lo, s0
	s_cbranch_execz .LBB18_287
; %bb.286:
	v_cmp_gt_f32_e64 vcc_lo, 0xf800000, |v2|
	v_mul_f32_e32 v3, 0.5, v3
	v_cndmask_b32_e64 v0, |v2|, v4, vcc_lo
	v_mul_f32_e32 v1, v1, v3
	v_sqrt_f32_e32 v2, v0
	v_add_nc_u32_e32 v4, -1, v2
	v_add_nc_u32_e32 v5, 1, v2
	v_fma_f32 v6, -v4, v2, v0
	v_fma_f32 v8, -v5, v2, v0
	v_cmp_ge_f32_e64 s0, 0, v6
	v_cndmask_b32_e64 v2, v2, v4, s0
	v_cmp_lt_f32_e64 s0, 0, v8
	v_cndmask_b32_e64 v2, v2, v5, s0
	v_mul_f32_e32 v4, 0x37800000, v2
	v_cndmask_b32_e32 v2, v2, v4, vcc_lo
	v_cmp_class_f32_e64 vcc_lo, v0, 0x260
	v_cndmask_b32_e32 v0, v2, v0, vcc_lo
	v_div_scale_f32 v2, null, v0, v0, v1
	v_rcp_f32_e32 v3, v2
	v_fma_f32 v4, -v2, v3, 1.0
	v_fmac_f32_e32 v3, v4, v3
	v_div_scale_f32 v4, vcc_lo, v1, v0, v1
	v_mul_f32_e32 v5, v4, v3
	v_fma_f32 v6, -v2, v5, v4
	v_fmac_f32_e32 v5, v6, v3
	v_fma_f32 v2, -v2, v5, v4
                                        ; implicit-def: $vgpr4
	v_div_fmas_f32 v2, v2, v3, v5
                                        ; implicit-def: $vgpr3
	v_div_fixup_f32 v0, v2, v0, v1
                                        ; implicit-def: $vgpr2
                                        ; implicit-def: $vgpr1
.LBB18_287:
	s_andn2_saveexec_b32 s18, s18
	s_cbranch_execz .LBB18_289
; %bb.288:
	v_cmp_gt_f32_e64 vcc_lo, 0xf800000, |v2|
	v_mul_f32_e32 v3, -0.5, v3
	v_cndmask_b32_e64 v0, |v2|, v4, vcc_lo
	v_mul_f32_e32 v1, v1, v3
	v_sqrt_f32_e32 v2, v0
	v_add_nc_u32_e32 v4, -1, v2
	v_add_nc_u32_e32 v5, 1, v2
	v_fma_f32 v6, -v4, v2, v0
	v_fma_f32 v8, -v5, v2, v0
	v_cmp_ge_f32_e64 s0, 0, v6
	v_cndmask_b32_e64 v2, v2, v4, s0
	v_cmp_lt_f32_e64 s0, 0, v8
	v_cndmask_b32_e64 v2, v2, v5, s0
	v_mul_f32_e32 v4, 0x37800000, v2
	v_cndmask_b32_e32 v2, v2, v4, vcc_lo
	v_cmp_class_f32_e64 vcc_lo, v0, 0x260
	v_cndmask_b32_e32 v0, v2, v0, vcc_lo
	v_div_scale_f32 v2, null, v0, v0, v1
	v_rcp_f32_e32 v3, v2
	v_fma_f32 v4, -v2, v3, 1.0
	v_fmac_f32_e32 v3, v4, v3
	v_div_scale_f32 v4, vcc_lo, v1, v0, v1
	v_mul_f32_e32 v5, v4, v3
	v_fma_f32 v6, -v2, v5, v4
	v_fmac_f32_e32 v5, v6, v3
	v_fma_f32 v2, -v2, v5, v4
	v_div_fmas_f32 v2, v2, v3, v5
	v_div_fixup_f32 v0, v2, v0, v1
.LBB18_289:
	s_or_b32 exec_lo, exec_lo, s18
.LBB18_290:
	s_or_b32 exec_lo, exec_lo, s16
	v_mul_lo_u32 v1, v7, s2
	s_and_b32 s16, s1, 0xff
	s_cmp_lt_i32 s16, 11
	v_ashrrev_i32_e32 v3, 31, v1
	v_add_co_u32 v2, vcc_lo, s8, v1
	v_add_co_ci_u32_e64 v3, null, s9, v3, vcc_lo
	s_cbranch_scc1 .LBB18_298
; %bb.291:
	s_and_b32 s18, 0xffff, s16
	s_cmp_gt_i32 s18, 25
	s_cbranch_scc0 .LBB18_300
; %bb.292:
	s_cmp_gt_i32 s18, 28
	s_cbranch_scc0 .LBB18_302
; %bb.293:
	;; [unrolled: 3-line block ×4, first 2 shown]
	s_mov_b32 s20, 0
	s_mov_b32 s0, -1
	s_cmp_eq_u32 s18, 46
	s_mov_b32 s19, 0
	s_cbranch_scc0 .LBB18_315
; %bb.296:
	v_bfe_u32 v1, v0, 16, 1
	v_cmp_o_f32_e32 vcc_lo, v0, v0
	v_mov_b32_e32 v4, 0x7fc0
	s_mov_b32 s19, -1
	s_mov_b32 s0, 0
	v_add3_u32 v1, v0, v1, 0x7fff
	v_cndmask_b32_sdwa v1, v4, v1, vcc_lo dst_sel:DWORD dst_unused:UNUSED_PAD src0_sel:DWORD src1_sel:WORD_1
	global_store_dword v[2:3], v1, off
	s_branch .LBB18_315
.LBB18_297:
	s_mov_b32 s18, -1
	s_mov_b32 s16, 0
	s_mov_b32 s15, s13
                                        ; implicit-def: $vgpr2
	s_branch .LBB18_452
.LBB18_298:
	s_mov_b32 s18, -1
	s_mov_b32 s19, 0
	s_mov_b32 s0, s7
	s_branch .LBB18_384
.LBB18_299:
	s_mov_b32 s18, -1
	s_mov_b32 s16, 0
	s_mov_b32 s15, s13
                                        ; implicit-def: $vgpr2
	s_branch .LBB18_433
.LBB18_300:
	s_mov_b32 s20, -1
	s_mov_b32 s19, 0
	s_mov_b32 s0, s7
	s_branch .LBB18_342
.LBB18_301:
	s_mov_b32 s18, -1
	s_mov_b32 s16, 0
	s_mov_b32 s15, s13
                                        ; implicit-def: $vgpr2
	s_branch .LBB18_428
.LBB18_302:
	s_mov_b32 s20, -1
	s_mov_b32 s19, 0
	s_mov_b32 s0, s7
	s_branch .LBB18_325
.LBB18_303:
	s_andn2_saveexec_b32 s19, s19
	s_cbranch_execz .LBB18_66
.LBB18_304:
	v_add_f32_e64 v1, 0x46000000, |v0|
	s_andn2_b32 s18, s18, exec_lo
	v_and_b32_e32 v1, 0xff, v1
	v_cmp_ne_u32_e32 vcc_lo, 0, v1
	s_and_b32 s20, vcc_lo, exec_lo
	s_or_b32 s18, s18, s20
	s_or_b32 exec_lo, exec_lo, s19
	v_mov_b32_e32 v4, 0
	s_and_saveexec_b32 s19, s18
	s_cbranch_execnz .LBB18_67
	s_branch .LBB18_68
.LBB18_305:
	s_mov_b32 s18, -1
	s_mov_b32 s16, 0
	s_mov_b32 s15, s13
	s_branch .LBB18_310
.LBB18_306:
	s_mov_b32 s20, -1
	s_mov_b32 s19, 0
	s_mov_b32 s0, s7
	s_branch .LBB18_321
.LBB18_307:
	s_andn2_saveexec_b32 s19, s19
	s_cbranch_execz .LBB18_79
.LBB18_308:
	v_add_f32_e64 v1, 0x42800000, |v0|
	s_andn2_b32 s18, s18, exec_lo
	v_and_b32_e32 v1, 0xff, v1
	v_cmp_ne_u32_e32 vcc_lo, 0, v1
	s_and_b32 s20, vcc_lo, exec_lo
	s_or_b32 s18, s18, s20
	s_or_b32 exec_lo, exec_lo, s19
	v_mov_b32_e32 v4, 0
	s_and_saveexec_b32 s19, s18
	s_cbranch_execnz .LBB18_80
	s_branch .LBB18_81
.LBB18_309:
	s_mov_b32 s15, -1
	s_mov_b32 s16, 0
.LBB18_310:
                                        ; implicit-def: $vgpr2
.LBB18_311:
	s_and_b32 vcc_lo, exec_lo, s18
	s_cbranch_vccz .LBB18_427
; %bb.312:
	s_cmp_eq_u32 s0, 44
	s_cbranch_scc0 .LBB18_426
; %bb.313:
	global_load_ubyte v2, v[0:1], off
	s_mov_b32 s15, 0
	s_mov_b32 s16, -1
	s_waitcnt vmcnt(0)
	v_lshlrev_b32_e32 v3, 23, v2
	v_cmp_ne_u32_e32 vcc_lo, 0xff, v2
	v_cndmask_b32_e32 v3, 0x7f800001, v3, vcc_lo
	v_cmp_ne_u32_e32 vcc_lo, 0, v2
	v_cndmask_b32_e32 v2, 0x400000, v3, vcc_lo
	s_branch .LBB18_427
.LBB18_314:
	s_mov_b32 s20, -1
	s_mov_b32 s19, 0
	s_mov_b32 s0, s7
.LBB18_315:
	s_and_b32 vcc_lo, exec_lo, s20
	s_cbranch_vccz .LBB18_320
; %bb.316:
	s_cmp_eq_u32 s18, 44
	s_mov_b32 s0, -1
	s_cbranch_scc0 .LBB18_320
; %bb.317:
	v_bfe_u32 v4, v0, 23, 8
	v_mov_b32_e32 v1, 0xff
	s_mov_b32 s19, exec_lo
	v_cmpx_ne_u32_e32 0xff, v4
	s_cbranch_execz .LBB18_319
; %bb.318:
	v_and_b32_e32 v1, 0x400000, v0
	v_and_or_b32 v4, 0x3fffff, v0, v4
	v_cmp_ne_u32_e32 vcc_lo, 0, v1
	v_cmp_ne_u32_e64 s0, 0, v4
	v_lshrrev_b32_e32 v1, 23, v0
	s_and_b32 s0, vcc_lo, s0
	v_cndmask_b32_e64 v4, 0, 1, s0
	v_add_nc_u32_e32 v1, v1, v4
.LBB18_319:
	s_or_b32 exec_lo, exec_lo, s19
	s_mov_b32 s19, -1
	s_mov_b32 s0, 0
	global_store_byte v[2:3], v1, off
.LBB18_320:
	s_mov_b32 s20, 0
.LBB18_321:
	s_and_b32 vcc_lo, exec_lo, s20
	s_cbranch_vccz .LBB18_324
; %bb.322:
	s_cmp_eq_u32 s18, 29
	s_mov_b32 s0, -1
	s_cbranch_scc0 .LBB18_324
; %bb.323:
	v_trunc_f32_e32 v1, v0
	s_mov_b32 s19, -1
	s_mov_b32 s0, 0
	s_mov_b32 s20, 0
	v_mul_f32_e32 v4, 0x2f800000, v1
	v_floor_f32_e32 v4, v4
	v_fmamk_f32 v1, v4, 0xcf800000, v1
	v_cvt_u32_f32_e32 v5, v4
	v_cvt_u32_f32_e32 v4, v1
	global_store_dwordx2 v[2:3], v[4:5], off
	s_branch .LBB18_325
.LBB18_324:
	s_mov_b32 s20, 0
.LBB18_325:
	s_and_b32 vcc_lo, exec_lo, s20
	s_cbranch_vccz .LBB18_341
; %bb.326:
	s_cmp_lt_i32 s18, 27
	s_mov_b32 s19, -1
	s_cbranch_scc1 .LBB18_332
; %bb.327:
	v_cvt_u32_f32_e32 v1, v0
	s_cmp_gt_i32 s18, 27
	s_cbranch_scc0 .LBB18_329
; %bb.328:
	s_mov_b32 s19, 0
	global_store_dword v[2:3], v1, off
.LBB18_329:
	s_andn2_b32 vcc_lo, exec_lo, s19
	s_cbranch_vccnz .LBB18_331
; %bb.330:
	global_store_short v[2:3], v1, off
.LBB18_331:
	s_mov_b32 s19, 0
.LBB18_332:
	s_andn2_b32 vcc_lo, exec_lo, s19
	s_cbranch_vccnz .LBB18_340
; %bb.333:
	v_and_b32_e32 v1, 0x7fffffff, v0
	v_mov_b32_e32 v4, 0x80
	s_mov_b32 s19, exec_lo
	v_cmpx_gt_u32_e32 0x43800000, v1
	s_cbranch_execz .LBB18_339
; %bb.334:
	v_cmp_lt_u32_e32 vcc_lo, 0x3bffffff, v1
	s_mov_b32 s20, 0
                                        ; implicit-def: $vgpr1
	s_and_saveexec_b32 s21, vcc_lo
	s_xor_b32 s21, exec_lo, s21
	s_cbranch_execz .LBB18_552
; %bb.335:
	v_bfe_u32 v1, v0, 20, 1
	s_mov_b32 s20, exec_lo
	v_add3_u32 v1, v0, v1, 0x487ffff
	v_lshrrev_b32_e32 v1, 20, v1
	s_andn2_saveexec_b32 s21, s21
	s_cbranch_execnz .LBB18_553
.LBB18_336:
	s_or_b32 exec_lo, exec_lo, s21
	v_mov_b32_e32 v4, 0
	s_and_saveexec_b32 s21, s20
.LBB18_337:
	v_lshrrev_b32_e32 v4, 24, v0
	v_and_or_b32 v4, 0x80, v4, v1
.LBB18_338:
	s_or_b32 exec_lo, exec_lo, s21
.LBB18_339:
	s_or_b32 exec_lo, exec_lo, s19
	global_store_byte v[2:3], v4, off
.LBB18_340:
	s_mov_b32 s19, -1
.LBB18_341:
	s_mov_b32 s20, 0
.LBB18_342:
	s_and_b32 vcc_lo, exec_lo, s20
	s_cbranch_vccz .LBB18_383
; %bb.343:
	s_cmp_gt_i32 s18, 22
	s_mov_b32 s20, -1
	s_cbranch_scc0 .LBB18_375
; %bb.344:
	s_cmp_lt_i32 s18, 24
	s_mov_b32 s19, -1
	s_cbranch_scc1 .LBB18_364
; %bb.345:
	s_cmp_gt_i32 s18, 24
	s_cbranch_scc0 .LBB18_353
; %bb.346:
	v_and_b32_e32 v1, 0x7fffffff, v0
	v_mov_b32_e32 v4, 0x80
	s_mov_b32 s19, exec_lo
	v_cmpx_gt_u32_e32 0x47800000, v1
	s_cbranch_execz .LBB18_352
; %bb.347:
	v_cmp_lt_u32_e32 vcc_lo, 0x37ffffff, v1
	s_mov_b32 s20, 0
                                        ; implicit-def: $vgpr1
	s_and_saveexec_b32 s21, vcc_lo
	s_xor_b32 s21, exec_lo, s21
	s_cbranch_execz .LBB18_555
; %bb.348:
	v_bfe_u32 v1, v0, 21, 1
	s_mov_b32 s20, exec_lo
	v_add3_u32 v1, v0, v1, 0x88fffff
	v_lshrrev_b32_e32 v1, 21, v1
	s_andn2_saveexec_b32 s21, s21
	s_cbranch_execnz .LBB18_556
.LBB18_349:
	s_or_b32 exec_lo, exec_lo, s21
	v_mov_b32_e32 v4, 0
	s_and_saveexec_b32 s21, s20
.LBB18_350:
	v_lshrrev_b32_e32 v4, 24, v0
	v_and_or_b32 v4, 0x80, v4, v1
.LBB18_351:
	s_or_b32 exec_lo, exec_lo, s21
.LBB18_352:
	s_or_b32 exec_lo, exec_lo, s19
	s_mov_b32 s19, 0
	global_store_byte v[2:3], v4, off
.LBB18_353:
	s_and_b32 vcc_lo, exec_lo, s19
	s_cbranch_vccz .LBB18_363
; %bb.354:
	v_and_b32_e32 v4, 0x7fffffff, v0
	s_mov_b32 s19, exec_lo
                                        ; implicit-def: $vgpr1
	v_cmpx_gt_u32_e32 0x43f00000, v4
	s_xor_b32 s19, exec_lo, s19
	s_cbranch_execz .LBB18_360
; %bb.355:
	s_mov_b32 s20, exec_lo
                                        ; implicit-def: $vgpr1
	v_cmpx_lt_u32_e32 0x3c7fffff, v4
	s_xor_b32 s20, exec_lo, s20
; %bb.356:
	v_bfe_u32 v1, v0, 20, 1
	v_add3_u32 v1, v0, v1, 0x407ffff
	v_and_b32_e32 v4, 0xff00000, v1
	v_lshrrev_b32_e32 v1, 20, v1
	v_cmp_ne_u32_e32 vcc_lo, 0x7f00000, v4
	v_cndmask_b32_e32 v1, 0x7e, v1, vcc_lo
; %bb.357:
	s_andn2_saveexec_b32 s20, s20
; %bb.358:
	v_add_f32_e64 v1, 0x46800000, |v0|
; %bb.359:
	s_or_b32 exec_lo, exec_lo, s20
                                        ; implicit-def: $vgpr4
.LBB18_360:
	s_andn2_saveexec_b32 s19, s19
; %bb.361:
	v_mov_b32_e32 v1, 0x7f
	v_cmp_lt_u32_e32 vcc_lo, 0x7f800000, v4
	v_cndmask_b32_e32 v1, 0x7e, v1, vcc_lo
; %bb.362:
	s_or_b32 exec_lo, exec_lo, s19
	v_lshrrev_b32_e32 v4, 24, v0
	v_and_or_b32 v1, 0x80, v4, v1
	global_store_byte v[2:3], v1, off
.LBB18_363:
	s_mov_b32 s19, 0
.LBB18_364:
	s_andn2_b32 vcc_lo, exec_lo, s19
	s_cbranch_vccnz .LBB18_374
; %bb.365:
	v_and_b32_e32 v4, 0x7fffffff, v0
	s_mov_b32 s19, exec_lo
                                        ; implicit-def: $vgpr1
	v_cmpx_gt_u32_e32 0x47800000, v4
	s_xor_b32 s19, exec_lo, s19
	s_cbranch_execz .LBB18_371
; %bb.366:
	s_mov_b32 s20, exec_lo
                                        ; implicit-def: $vgpr1
	v_cmpx_lt_u32_e32 0x387fffff, v4
	s_xor_b32 s20, exec_lo, s20
; %bb.367:
	v_bfe_u32 v1, v0, 21, 1
	v_add3_u32 v1, v0, v1, 0x80fffff
	v_lshrrev_b32_e32 v1, 21, v1
; %bb.368:
	s_andn2_saveexec_b32 s20, s20
; %bb.369:
	v_add_f32_e64 v1, 0x43000000, |v0|
; %bb.370:
	s_or_b32 exec_lo, exec_lo, s20
                                        ; implicit-def: $vgpr4
.LBB18_371:
	s_andn2_saveexec_b32 s19, s19
; %bb.372:
	v_mov_b32_e32 v1, 0x7f
	v_cmp_lt_u32_e32 vcc_lo, 0x7f800000, v4
	v_cndmask_b32_e32 v1, 0x7c, v1, vcc_lo
; %bb.373:
	s_or_b32 exec_lo, exec_lo, s19
	v_lshrrev_b32_e32 v4, 24, v0
	v_and_or_b32 v1, 0x80, v4, v1
	global_store_byte v[2:3], v1, off
.LBB18_374:
	s_mov_b32 s20, 0
	s_mov_b32 s19, -1
.LBB18_375:
	s_andn2_b32 vcc_lo, exec_lo, s20
	s_cbranch_vccnz .LBB18_383
; %bb.376:
	s_cmp_gt_i32 s18, 14
	s_mov_b32 s20, -1
	s_cbranch_scc0 .LBB18_380
; %bb.377:
	s_cmp_eq_u32 s18, 15
	s_mov_b32 s0, -1
	s_cbranch_scc0 .LBB18_379
; %bb.378:
	v_bfe_u32 v1, v0, 16, 1
	v_cmp_o_f32_e32 vcc_lo, v0, v0
	v_mov_b32_e32 v4, 0x7fc0
	s_mov_b32 s19, -1
	s_mov_b32 s0, 0
	v_add3_u32 v1, v0, v1, 0x7fff
	v_cndmask_b32_sdwa v1, v4, v1, vcc_lo dst_sel:DWORD dst_unused:UNUSED_PAD src0_sel:DWORD src1_sel:WORD_1
	global_store_short v[2:3], v1, off
.LBB18_379:
	s_mov_b32 s20, 0
.LBB18_380:
	s_and_b32 vcc_lo, exec_lo, s20
	s_cbranch_vccz .LBB18_383
; %bb.381:
	s_cmp_eq_u32 s18, 11
	s_mov_b32 s0, -1
	s_cbranch_scc0 .LBB18_383
; %bb.382:
	v_cmp_neq_f32_e32 vcc_lo, 0, v0
	s_mov_b32 s0, 0
	s_mov_b32 s19, -1
	v_cndmask_b32_e64 v1, 0, 1, vcc_lo
	global_store_byte v[2:3], v1, off
.LBB18_383:
	s_mov_b32 s18, 0
.LBB18_384:
	s_and_b32 vcc_lo, exec_lo, s18
	s_cbranch_vccz .LBB18_423
; %bb.385:
	s_and_b32 s16, 0xffff, s16
	s_mov_b32 s18, -1
	s_cmp_lt_i32 s16, 5
	s_cbranch_scc1 .LBB18_406
; %bb.386:
	s_cmp_lt_i32 s16, 8
	s_cbranch_scc1 .LBB18_396
; %bb.387:
	;; [unrolled: 3-line block ×3, first 2 shown]
	s_cmp_gt_i32 s16, 9
	s_cbranch_scc0 .LBB18_390
; %bb.389:
	v_cvt_f64_f32_e32 v[8:9], v0
	v_mov_b32_e32 v10, 0
	s_mov_b32 s18, 0
	v_mov_b32_e32 v11, v10
	global_store_dwordx4 v[2:3], v[8:11], off
.LBB18_390:
	s_andn2_b32 vcc_lo, exec_lo, s18
	s_cbranch_vccnz .LBB18_392
; %bb.391:
	v_mov_b32_e32 v1, 0
	global_store_dwordx2 v[2:3], v[0:1], off
.LBB18_392:
	s_mov_b32 s18, 0
.LBB18_393:
	s_andn2_b32 vcc_lo, exec_lo, s18
	s_cbranch_vccnz .LBB18_395
; %bb.394:
	v_cvt_f16_f32_e32 v1, v0
	v_and_b32_e32 v1, 0xffff, v1
	global_store_dword v[2:3], v1, off
.LBB18_395:
	s_mov_b32 s18, 0
.LBB18_396:
	s_andn2_b32 vcc_lo, exec_lo, s18
	s_cbranch_vccnz .LBB18_405
; %bb.397:
	s_cmp_lt_i32 s16, 6
	s_mov_b32 s18, -1
	s_cbranch_scc1 .LBB18_403
; %bb.398:
	s_cmp_gt_i32 s16, 6
	s_cbranch_scc0 .LBB18_400
; %bb.399:
	v_cvt_f64_f32_e32 v[4:5], v0
	s_mov_b32 s18, 0
	global_store_dwordx2 v[2:3], v[4:5], off
.LBB18_400:
	s_andn2_b32 vcc_lo, exec_lo, s18
	s_cbranch_vccnz .LBB18_402
; %bb.401:
	global_store_dword v[2:3], v0, off
.LBB18_402:
	s_mov_b32 s18, 0
.LBB18_403:
	s_andn2_b32 vcc_lo, exec_lo, s18
	s_cbranch_vccnz .LBB18_405
; %bb.404:
	v_cvt_f16_f32_e32 v1, v0
	global_store_short v[2:3], v1, off
.LBB18_405:
	s_mov_b32 s18, 0
.LBB18_406:
	s_andn2_b32 vcc_lo, exec_lo, s18
	s_cbranch_vccnz .LBB18_422
; %bb.407:
	s_cmp_lt_i32 s16, 2
	s_mov_b32 s18, -1
	s_cbranch_scc1 .LBB18_417
; %bb.408:
	s_cmp_lt_i32 s16, 3
	s_cbranch_scc1 .LBB18_414
; %bb.409:
	s_cmp_gt_i32 s16, 3
	s_cbranch_scc0 .LBB18_411
; %bb.410:
	v_trunc_f32_e32 v1, v0
	s_mov_b32 s18, 0
	v_mul_f32_e64 v4, 0x2f800000, |v1|
	v_floor_f32_e32 v4, v4
	v_fma_f32 v5, 0xcf800000, v4, |v1|
	v_ashrrev_i32_e32 v1, 31, v1
	v_cvt_u32_f32_e32 v4, v4
	v_cvt_u32_f32_e32 v5, v5
	v_xor_b32_e32 v6, v4, v1
	v_xor_b32_e32 v5, v5, v1
	v_sub_co_u32 v4, vcc_lo, v5, v1
	v_sub_co_ci_u32_e64 v5, null, v6, v1, vcc_lo
	global_store_dwordx2 v[2:3], v[4:5], off
.LBB18_411:
	s_andn2_b32 vcc_lo, exec_lo, s18
	s_cbranch_vccnz .LBB18_413
; %bb.412:
	v_cvt_i32_f32_e32 v1, v0
	global_store_dword v[2:3], v1, off
.LBB18_413:
	s_mov_b32 s18, 0
.LBB18_414:
	s_andn2_b32 vcc_lo, exec_lo, s18
	s_cbranch_vccnz .LBB18_416
; %bb.415:
	v_cvt_i32_f32_e32 v1, v0
	global_store_short v[2:3], v1, off
.LBB18_416:
	s_mov_b32 s18, 0
.LBB18_417:
	s_andn2_b32 vcc_lo, exec_lo, s18
	s_cbranch_vccnz .LBB18_422
; %bb.418:
	s_cmp_gt_i32 s16, 0
	s_mov_b32 s16, -1
	s_cbranch_scc0 .LBB18_420
; %bb.419:
	v_cvt_i32_f32_e32 v1, v0
	s_mov_b32 s16, 0
	global_store_byte v[2:3], v1, off
.LBB18_420:
	s_andn2_b32 vcc_lo, exec_lo, s16
	s_cbranch_vccnz .LBB18_422
; %bb.421:
	v_trunc_f32_e32 v0, v0
	v_mul_f32_e64 v1, 0x2f800000, |v0|
	v_floor_f32_e32 v1, v1
	v_fma_f32 v1, 0xcf800000, v1, |v0|
	v_ashrrev_i32_e32 v0, 31, v0
	v_cvt_u32_f32_e32 v1, v1
	v_xor_b32_e32 v1, v1, v0
	v_sub_nc_u32_e32 v0, v1, v0
	global_store_byte v[2:3], v0, off
.LBB18_422:
	s_mov_b32 s19, -1
.LBB18_423:
	s_andn2_b32 vcc_lo, exec_lo, s19
	s_cbranch_vccnz .LBB18_425
; %bb.424:
	v_add_nc_u32_e32 v7, 0x80, v7
	s_mov_b32 s18, -1
	s_branch .LBB18_538
.LBB18_425:
	s_mov_b32 s18, 0
	s_branch .LBB18_537
.LBB18_426:
	s_mov_b32 s15, -1
                                        ; implicit-def: $vgpr2
.LBB18_427:
	s_mov_b32 s18, 0
.LBB18_428:
	s_and_b32 vcc_lo, exec_lo, s18
	s_cbranch_vccz .LBB18_432
; %bb.429:
	s_cmp_eq_u32 s0, 29
	s_cbranch_scc0 .LBB18_431
; %bb.430:
	global_load_dwordx2 v[2:3], v[0:1], off
	s_mov_b32 s16, -1
	s_mov_b32 s15, 0
	s_mov_b32 s18, 0
	s_waitcnt vmcnt(0)
	v_ffbh_u32_e32 v4, v3
	v_min_u32_e32 v4, 32, v4
	v_lshlrev_b64 v[2:3], v4, v[2:3]
	v_min_u32_e32 v2, 1, v2
	v_or_b32_e32 v2, v3, v2
	v_sub_nc_u32_e32 v3, 32, v4
	v_cvt_f32_u32_e32 v2, v2
	v_ldexp_f32 v2, v2, v3
	s_branch .LBB18_433
.LBB18_431:
	s_mov_b32 s15, -1
                                        ; implicit-def: $vgpr2
.LBB18_432:
	s_mov_b32 s18, 0
.LBB18_433:
	s_and_b32 vcc_lo, exec_lo, s18
	s_cbranch_vccz .LBB18_451
; %bb.434:
	s_cmp_lt_i32 s0, 27
	s_cbranch_scc1 .LBB18_437
; %bb.435:
	s_cmp_gt_i32 s0, 27
	s_cbranch_scc0 .LBB18_438
; %bb.436:
	global_load_dword v2, v[0:1], off
	s_mov_b32 s16, 0
	s_waitcnt vmcnt(0)
	v_cvt_f32_u32_e32 v2, v2
	s_branch .LBB18_439
.LBB18_437:
	s_mov_b32 s16, -1
                                        ; implicit-def: $vgpr2
	s_branch .LBB18_442
.LBB18_438:
	s_mov_b32 s16, -1
                                        ; implicit-def: $vgpr2
.LBB18_439:
	s_andn2_b32 vcc_lo, exec_lo, s16
	s_cbranch_vccnz .LBB18_441
; %bb.440:
	global_load_ushort v2, v[0:1], off
	s_waitcnt vmcnt(0)
	v_cvt_f32_u32_e32 v2, v2
.LBB18_441:
	s_mov_b32 s16, 0
.LBB18_442:
	s_andn2_b32 vcc_lo, exec_lo, s16
	s_cbranch_vccnz .LBB18_450
; %bb.443:
	global_load_ubyte v3, v[0:1], off
	s_mov_b32 s16, 0
	s_mov_b32 s18, exec_lo
	s_waitcnt vmcnt(0)
	v_cmpx_lt_i16_e32 0x7f, v3
	s_xor_b32 s18, exec_lo, s18
	s_cbranch_execz .LBB18_464
; %bb.444:
	s_mov_b32 s16, -1
	s_mov_b32 s19, exec_lo
	v_cmpx_eq_u16_e32 0x80, v3
; %bb.445:
	s_xor_b32 s16, exec_lo, -1
; %bb.446:
	s_or_b32 exec_lo, exec_lo, s19
	s_and_b32 s16, s16, exec_lo
	s_or_saveexec_b32 s18, s18
	v_mov_b32_e32 v2, 0x7f800001
	s_xor_b32 exec_lo, exec_lo, s18
	s_cbranch_execnz .LBB18_465
.LBB18_447:
	s_or_b32 exec_lo, exec_lo, s18
	s_and_saveexec_b32 s18, s16
	s_cbranch_execz .LBB18_449
.LBB18_448:
	v_and_b32_e32 v2, 0xffff, v3
	v_lshlrev_b32_e32 v3, 24, v3
	v_and_b32_e32 v4, 7, v2
	v_bfe_u32 v8, v2, 3, 4
	v_and_b32_e32 v3, 0x80000000, v3
	v_ffbh_u32_e32 v5, v4
	v_cmp_eq_u32_e32 vcc_lo, 0, v8
	v_min_u32_e32 v5, 32, v5
	v_subrev_nc_u32_e32 v6, 28, v5
	v_sub_nc_u32_e32 v5, 29, v5
	v_lshlrev_b32_e32 v2, v6, v2
	v_cndmask_b32_e32 v5, v8, v5, vcc_lo
	v_and_b32_e32 v2, 7, v2
	v_cndmask_b32_e32 v2, v4, v2, vcc_lo
	v_lshl_add_u32 v4, v5, 23, 0x3b800000
	v_lshlrev_b32_e32 v2, 20, v2
	v_or3_b32 v2, v3, v4, v2
.LBB18_449:
	s_or_b32 exec_lo, exec_lo, s18
.LBB18_450:
	s_mov_b32 s16, -1
.LBB18_451:
	s_mov_b32 s18, 0
.LBB18_452:
	s_and_b32 vcc_lo, exec_lo, s18
	s_cbranch_vccz .LBB18_487
; %bb.453:
	s_cmp_gt_i32 s0, 22
	s_cbranch_scc0 .LBB18_463
; %bb.454:
	s_cmp_lt_i32 s0, 24
	s_cbranch_scc1 .LBB18_466
; %bb.455:
	s_cmp_gt_i32 s0, 24
	s_cbranch_scc0 .LBB18_467
; %bb.456:
	global_load_ubyte v3, v[0:1], off
	s_mov_b32 s16, 0
	s_mov_b32 s18, exec_lo
	s_waitcnt vmcnt(0)
	v_cmpx_lt_i16_e32 0x7f, v3
	s_xor_b32 s18, exec_lo, s18
	s_cbranch_execz .LBB18_479
; %bb.457:
	s_mov_b32 s16, -1
	s_mov_b32 s19, exec_lo
	v_cmpx_eq_u16_e32 0x80, v3
; %bb.458:
	s_xor_b32 s16, exec_lo, -1
; %bb.459:
	s_or_b32 exec_lo, exec_lo, s19
	s_and_b32 s16, s16, exec_lo
	s_or_saveexec_b32 s18, s18
	v_mov_b32_e32 v2, 0x7f800001
	s_xor_b32 exec_lo, exec_lo, s18
	s_cbranch_execnz .LBB18_480
.LBB18_460:
	s_or_b32 exec_lo, exec_lo, s18
	s_and_saveexec_b32 s18, s16
	s_cbranch_execz .LBB18_462
.LBB18_461:
	v_and_b32_e32 v2, 0xffff, v3
	v_lshlrev_b32_e32 v3, 24, v3
	v_and_b32_e32 v4, 3, v2
	v_bfe_u32 v8, v2, 2, 5
	v_and_b32_e32 v3, 0x80000000, v3
	v_ffbh_u32_e32 v5, v4
	v_cmp_eq_u32_e32 vcc_lo, 0, v8
	v_min_u32_e32 v5, 32, v5
	v_subrev_nc_u32_e32 v6, 29, v5
	v_sub_nc_u32_e32 v5, 30, v5
	v_lshlrev_b32_e32 v2, v6, v2
	v_cndmask_b32_e32 v5, v8, v5, vcc_lo
	v_and_b32_e32 v2, 3, v2
	v_cndmask_b32_e32 v2, v4, v2, vcc_lo
	v_lshl_add_u32 v4, v5, 23, 0x37800000
	v_lshlrev_b32_e32 v2, 21, v2
	v_or3_b32 v2, v3, v4, v2
.LBB18_462:
	s_or_b32 exec_lo, exec_lo, s18
	s_mov_b32 s16, 0
	s_branch .LBB18_468
.LBB18_463:
	s_mov_b32 s18, -1
                                        ; implicit-def: $vgpr2
	s_branch .LBB18_474
.LBB18_464:
	s_or_saveexec_b32 s18, s18
	v_mov_b32_e32 v2, 0x7f800001
	s_xor_b32 exec_lo, exec_lo, s18
	s_cbranch_execz .LBB18_447
.LBB18_465:
	v_cmp_ne_u16_e32 vcc_lo, 0, v3
	v_mov_b32_e32 v2, 0
	s_andn2_b32 s16, s16, exec_lo
	s_and_b32 s19, vcc_lo, exec_lo
	s_or_b32 s16, s16, s19
	s_or_b32 exec_lo, exec_lo, s18
	s_and_saveexec_b32 s18, s16
	s_cbranch_execnz .LBB18_448
	s_branch .LBB18_449
.LBB18_466:
	s_mov_b32 s16, -1
                                        ; implicit-def: $vgpr2
	s_branch .LBB18_471
.LBB18_467:
	s_mov_b32 s16, -1
                                        ; implicit-def: $vgpr2
.LBB18_468:
	s_and_b32 vcc_lo, exec_lo, s16
	s_cbranch_vccz .LBB18_470
; %bb.469:
	global_load_ubyte v2, v[0:1], off
	s_waitcnt vmcnt(0)
	v_lshlrev_b32_e32 v2, 24, v2
	v_and_b32_e32 v3, 0x7f000000, v2
	v_ffbh_u32_e32 v4, v3
	v_add_nc_u32_e32 v6, 0x1000000, v3
	v_cmp_ne_u32_e32 vcc_lo, 0, v3
	v_min_u32_e32 v4, 32, v4
	v_sub_nc_u32_e64 v4, v4, 4 clamp
	v_lshlrev_b32_e32 v5, v4, v3
	v_lshlrev_b32_e32 v4, 23, v4
	v_lshrrev_b32_e32 v5, 4, v5
	v_sub_nc_u32_e32 v4, v5, v4
	v_ashrrev_i32_e32 v5, 8, v6
	v_add_nc_u32_e32 v4, 0x3c000000, v4
	v_and_or_b32 v4, 0x7f800000, v5, v4
	v_cndmask_b32_e32 v3, 0, v4, vcc_lo
	v_and_or_b32 v2, 0x80000000, v2, v3
.LBB18_470:
	s_mov_b32 s16, 0
.LBB18_471:
	s_andn2_b32 vcc_lo, exec_lo, s16
	s_cbranch_vccnz .LBB18_473
; %bb.472:
	global_load_ubyte v2, v[0:1], off
	s_waitcnt vmcnt(0)
	v_lshlrev_b32_e32 v3, 25, v2
	v_lshlrev_b16 v2, 8, v2
	v_lshrrev_b32_e32 v4, 4, v3
	v_and_or_b32 v5, 0x7f00, v2, 0.5
	v_cmp_gt_u32_e32 vcc_lo, 0x8000000, v3
	v_bfe_i32 v2, v2, 0, 16
	v_or_b32_e32 v4, 0x70000000, v4
	v_add_f32_e32 v5, -0.5, v5
	v_mul_f32_e32 v4, 0x7800000, v4
	v_cndmask_b32_e32 v3, v4, v5, vcc_lo
	v_and_or_b32 v2, 0x80000000, v2, v3
.LBB18_473:
	s_mov_b32 s18, 0
	s_mov_b32 s16, -1
.LBB18_474:
	s_andn2_b32 vcc_lo, exec_lo, s18
	s_cbranch_vccnz .LBB18_487
; %bb.475:
	s_cmp_gt_i32 s0, 14
	s_cbranch_scc0 .LBB18_478
; %bb.476:
	s_cmp_eq_u32 s0, 15
	s_cbranch_scc0 .LBB18_481
; %bb.477:
	global_load_ushort v2, v[0:1], off
	s_mov_b32 s16, -1
	s_mov_b32 s15, 0
	s_waitcnt vmcnt(0)
	v_lshlrev_b32_e32 v2, 16, v2
	s_branch .LBB18_482
.LBB18_478:
	s_mov_b32 s18, -1
                                        ; implicit-def: $vgpr2
	s_branch .LBB18_483
.LBB18_479:
	s_or_saveexec_b32 s18, s18
	v_mov_b32_e32 v2, 0x7f800001
	s_xor_b32 exec_lo, exec_lo, s18
	s_cbranch_execz .LBB18_460
.LBB18_480:
	v_cmp_ne_u16_e32 vcc_lo, 0, v3
	v_mov_b32_e32 v2, 0
	s_andn2_b32 s16, s16, exec_lo
	s_and_b32 s19, vcc_lo, exec_lo
	s_or_b32 s16, s16, s19
	s_or_b32 exec_lo, exec_lo, s18
	s_and_saveexec_b32 s18, s16
	s_cbranch_execnz .LBB18_461
	s_branch .LBB18_462
.LBB18_481:
	s_mov_b32 s15, -1
                                        ; implicit-def: $vgpr2
.LBB18_482:
	s_mov_b32 s18, 0
.LBB18_483:
	s_and_b32 vcc_lo, exec_lo, s18
	s_cbranch_vccz .LBB18_487
; %bb.484:
	s_cmp_eq_u32 s0, 11
	s_cbranch_scc0 .LBB18_486
; %bb.485:
	global_load_ubyte v2, v[0:1], off
	s_mov_b32 s15, 0
	s_mov_b32 s16, -1
	s_waitcnt vmcnt(0)
	v_cmp_ne_u16_e32 vcc_lo, 0, v2
	v_cndmask_b32_e64 v2, 0, 1.0, vcc_lo
	s_branch .LBB18_487
.LBB18_486:
	s_mov_b32 s15, -1
                                        ; implicit-def: $vgpr2
.LBB18_487:
	s_branch .LBB18_277
.LBB18_488:
	s_cmp_lt_i32 s0, 5
	s_cbranch_scc1 .LBB18_493
; %bb.489:
	s_cmp_lt_i32 s0, 8
	s_cbranch_scc1 .LBB18_494
; %bb.490:
	;; [unrolled: 3-line block ×3, first 2 shown]
	s_cmp_gt_i32 s0, 9
	s_cbranch_scc0 .LBB18_496
; %bb.492:
	global_load_dwordx2 v[2:3], v[0:1], off
	s_mov_b32 s16, 0
	s_waitcnt vmcnt(0)
	v_cvt_f32_f64_e32 v2, v[2:3]
	s_branch .LBB18_497
.LBB18_493:
	s_mov_b32 s16, -1
                                        ; implicit-def: $vgpr2
	s_branch .LBB18_515
.LBB18_494:
	s_mov_b32 s16, -1
                                        ; implicit-def: $vgpr2
	s_branch .LBB18_503
.LBB18_495:
	s_mov_b32 s16, -1
                                        ; implicit-def: $vgpr2
	s_branch .LBB18_500
.LBB18_496:
	s_mov_b32 s16, -1
                                        ; implicit-def: $vgpr2
.LBB18_497:
	s_andn2_b32 vcc_lo, exec_lo, s16
	s_cbranch_vccnz .LBB18_499
; %bb.498:
	global_load_dword v2, v[0:1], off
.LBB18_499:
	s_mov_b32 s16, 0
.LBB18_500:
	s_andn2_b32 vcc_lo, exec_lo, s16
	s_cbranch_vccnz .LBB18_502
; %bb.501:
	global_load_dword v2, v[0:1], off
	s_waitcnt vmcnt(0)
	v_cvt_f32_f16_e32 v2, v2
.LBB18_502:
	s_mov_b32 s16, 0
.LBB18_503:
	s_andn2_b32 vcc_lo, exec_lo, s16
	s_cbranch_vccnz .LBB18_514
; %bb.504:
	s_cmp_lt_i32 s0, 6
	s_cbranch_scc1 .LBB18_507
; %bb.505:
	s_cmp_gt_i32 s0, 6
	s_cbranch_scc0 .LBB18_508
; %bb.506:
	global_load_dwordx2 v[2:3], v[0:1], off
	s_mov_b32 s16, 0
	s_waitcnt vmcnt(0)
	v_cvt_f32_f64_e32 v2, v[2:3]
	s_branch .LBB18_509
.LBB18_507:
	s_mov_b32 s16, -1
                                        ; implicit-def: $vgpr2
	s_branch .LBB18_512
.LBB18_508:
	s_mov_b32 s16, -1
                                        ; implicit-def: $vgpr2
.LBB18_509:
	s_andn2_b32 vcc_lo, exec_lo, s16
	s_cbranch_vccnz .LBB18_511
; %bb.510:
	global_load_dword v2, v[0:1], off
.LBB18_511:
	s_mov_b32 s16, 0
.LBB18_512:
	s_andn2_b32 vcc_lo, exec_lo, s16
	s_cbranch_vccnz .LBB18_514
; %bb.513:
	global_load_ushort v2, v[0:1], off
	s_waitcnt vmcnt(0)
	v_cvt_f32_f16_e32 v2, v2
.LBB18_514:
	s_mov_b32 s16, 0
.LBB18_515:
	s_andn2_b32 vcc_lo, exec_lo, s16
	s_cbranch_vccnz .LBB18_535
; %bb.516:
	s_cmp_lt_i32 s0, 2
	s_cbranch_scc1 .LBB18_520
; %bb.517:
	s_cmp_lt_i32 s0, 3
	s_cbranch_scc1 .LBB18_521
; %bb.518:
	s_cmp_gt_i32 s0, 3
	s_cbranch_scc0 .LBB18_522
; %bb.519:
	global_load_dwordx2 v[2:3], v[0:1], off
	s_mov_b32 s16, 0
	s_waitcnt vmcnt(0)
	v_xor_b32_e32 v4, v2, v3
	v_ffbh_i32_e32 v5, v3
	v_ashrrev_i32_e32 v4, 31, v4
	v_add_nc_u32_e32 v5, -1, v5
	v_add_nc_u32_e32 v4, 32, v4
	v_min_u32_e32 v4, v5, v4
	v_lshlrev_b64 v[2:3], v4, v[2:3]
	v_min_u32_e32 v2, 1, v2
	v_or_b32_e32 v2, v3, v2
	v_sub_nc_u32_e32 v3, 32, v4
	v_cvt_f32_i32_e32 v2, v2
	v_ldexp_f32 v2, v2, v3
	s_branch .LBB18_523
.LBB18_520:
	s_mov_b32 s16, -1
                                        ; implicit-def: $vgpr2
	s_branch .LBB18_529
.LBB18_521:
	s_mov_b32 s16, -1
                                        ; implicit-def: $vgpr2
	s_branch .LBB18_526
.LBB18_522:
	s_mov_b32 s16, -1
                                        ; implicit-def: $vgpr2
.LBB18_523:
	s_andn2_b32 vcc_lo, exec_lo, s16
	s_cbranch_vccnz .LBB18_525
; %bb.524:
	global_load_dword v2, v[0:1], off
	s_waitcnt vmcnt(0)
	v_cvt_f32_i32_e32 v2, v2
.LBB18_525:
	s_mov_b32 s16, 0
.LBB18_526:
	s_andn2_b32 vcc_lo, exec_lo, s16
	s_cbranch_vccnz .LBB18_528
; %bb.527:
	global_load_sshort v2, v[0:1], off
	s_waitcnt vmcnt(0)
	v_cvt_f32_i32_e32 v2, v2
.LBB18_528:
	s_mov_b32 s16, 0
.LBB18_529:
	s_andn2_b32 vcc_lo, exec_lo, s16
	s_cbranch_vccnz .LBB18_535
; %bb.530:
	s_cmp_gt_i32 s0, 0
	s_mov_b32 s0, 0
	s_cbranch_scc0 .LBB18_532
; %bb.531:
	global_load_sbyte v2, v[0:1], off
	s_waitcnt vmcnt(0)
	v_cvt_f32_i32_e32 v2, v2
	s_branch .LBB18_533
.LBB18_532:
	s_mov_b32 s0, -1
                                        ; implicit-def: $vgpr2
.LBB18_533:
	s_andn2_b32 vcc_lo, exec_lo, s0
	s_cbranch_vccnz .LBB18_535
; %bb.534:
	global_load_ubyte v0, v[0:1], off
	s_waitcnt vmcnt(0)
	v_cvt_f32_ubyte0_e32 v2, v0
.LBB18_535:
	s_branch .LBB18_278
.LBB18_536:
	s_mov_b32 s18, 0
	s_mov_b32 s0, s7
.LBB18_537:
                                        ; implicit-def: $vgpr7
.LBB18_538:
	s_andn2_b32 s16, s7, exec_lo
	s_and_b32 s0, s0, exec_lo
	s_andn2_b32 s19, s13, exec_lo
	s_and_b32 s15, s15, exec_lo
	s_or_b32 s16, s16, s0
	s_or_b32 s15, s19, s15
	s_orn2_b32 s0, s18, exec_lo
.LBB18_539:
	s_or_b32 exec_lo, exec_lo, s17
	s_mov_b32 s18, 0
	s_mov_b32 s19, 0
	;; [unrolled: 1-line block ×3, first 2 shown]
                                        ; implicit-def: $vgpr0_vgpr1
                                        ; implicit-def: $vgpr4
	s_and_saveexec_b32 s17, s0
	s_cbranch_execz .LBB18_898
; %bb.540:
	s_mov_b32 s20, -1
	s_mov_b32 s0, s15
	s_mov_b32 s19, s16
	s_mov_b32 s18, exec_lo
	v_cmpx_gt_i32_e64 s12, v7
	s_cbranch_execz .LBB18_812
; %bb.541:
	v_mul_lo_u32 v0, v7, s3
	s_and_b32 s0, 0xffff, s5
	s_cmp_lt_i32 s0, 11
	v_ashrrev_i32_e32 v1, 31, v0
	v_add_co_u32 v0, vcc_lo, s10, v0
	v_add_co_ci_u32_e64 v1, null, s11, v1, vcc_lo
	s_cbranch_scc1 .LBB18_548
; %bb.542:
	s_cmp_gt_i32 s0, 25
	s_cbranch_scc0 .LBB18_549
; %bb.543:
	s_cmp_gt_i32 s0, 28
	s_cbranch_scc0 .LBB18_550
	;; [unrolled: 3-line block ×4, first 2 shown]
; %bb.546:
	s_cmp_eq_u32 s0, 46
	s_mov_b32 s21, 0
	s_cbranch_scc0 .LBB18_557
; %bb.547:
	global_load_dword v2, v[0:1], off
	s_mov_b32 s19, 0
	s_waitcnt vmcnt(0)
	v_lshlrev_b32_e32 v2, 16, v2
	s_branch .LBB18_559
.LBB18_548:
	s_mov_b32 s21, -1
	s_mov_b32 s20, 0
	s_mov_b32 s19, s15
                                        ; implicit-def: $vgpr2
	s_branch .LBB18_624
.LBB18_549:
	s_mov_b32 s21, -1
	s_mov_b32 s20, 0
	s_mov_b32 s19, s15
                                        ; implicit-def: $vgpr2
	s_branch .LBB18_588
.LBB18_550:
	s_mov_b32 s21, -1
	s_mov_b32 s20, 0
	s_mov_b32 s19, s15
                                        ; implicit-def: $vgpr2
	s_branch .LBB18_569
.LBB18_551:
	s_mov_b32 s21, -1
	s_mov_b32 s20, 0
	s_mov_b32 s19, s15
                                        ; implicit-def: $vgpr2
	s_branch .LBB18_564
.LBB18_552:
	s_andn2_saveexec_b32 s21, s21
	s_cbranch_execz .LBB18_336
.LBB18_553:
	v_add_f32_e64 v1, 0x46000000, |v0|
	s_andn2_b32 s20, s20, exec_lo
	v_and_b32_e32 v1, 0xff, v1
	v_cmp_ne_u32_e32 vcc_lo, 0, v1
	s_and_b32 s22, vcc_lo, exec_lo
	s_or_b32 s20, s20, s22
	s_or_b32 exec_lo, exec_lo, s21
	v_mov_b32_e32 v4, 0
	s_and_saveexec_b32 s21, s20
	s_cbranch_execnz .LBB18_337
	s_branch .LBB18_338
.LBB18_554:
	s_mov_b32 s21, -1
	s_mov_b32 s20, 0
	s_mov_b32 s19, s15
	s_branch .LBB18_558
.LBB18_555:
	s_andn2_saveexec_b32 s21, s21
	s_cbranch_execz .LBB18_349
.LBB18_556:
	v_add_f32_e64 v1, 0x42800000, |v0|
	s_andn2_b32 s20, s20, exec_lo
	v_and_b32_e32 v1, 0xff, v1
	v_cmp_ne_u32_e32 vcc_lo, 0, v1
	s_and_b32 s22, vcc_lo, exec_lo
	s_or_b32 s20, s20, s22
	s_or_b32 exec_lo, exec_lo, s21
	v_mov_b32_e32 v4, 0
	s_and_saveexec_b32 s21, s20
	s_cbranch_execnz .LBB18_350
	s_branch .LBB18_351
.LBB18_557:
	s_mov_b32 s19, -1
	s_mov_b32 s20, 0
.LBB18_558:
                                        ; implicit-def: $vgpr2
.LBB18_559:
	s_and_b32 vcc_lo, exec_lo, s21
	s_cbranch_vccz .LBB18_563
; %bb.560:
	s_cmp_eq_u32 s0, 44
	s_cbranch_scc0 .LBB18_562
; %bb.561:
	global_load_ubyte v2, v[0:1], off
	s_mov_b32 s19, 0
	s_mov_b32 s20, -1
	s_waitcnt vmcnt(0)
	v_lshlrev_b32_e32 v3, 23, v2
	v_cmp_ne_u32_e32 vcc_lo, 0xff, v2
	v_cndmask_b32_e32 v3, 0x7f800001, v3, vcc_lo
	v_cmp_ne_u32_e32 vcc_lo, 0, v2
	v_cndmask_b32_e32 v2, 0x400000, v3, vcc_lo
	s_branch .LBB18_563
.LBB18_562:
	s_mov_b32 s19, -1
                                        ; implicit-def: $vgpr2
.LBB18_563:
	s_mov_b32 s21, 0
.LBB18_564:
	s_and_b32 vcc_lo, exec_lo, s21
	s_cbranch_vccz .LBB18_568
; %bb.565:
	s_cmp_eq_u32 s0, 29
	s_cbranch_scc0 .LBB18_567
; %bb.566:
	global_load_dwordx2 v[2:3], v[0:1], off
	s_mov_b32 s20, -1
	s_mov_b32 s19, 0
	s_mov_b32 s21, 0
	s_waitcnt vmcnt(0)
	v_ffbh_u32_e32 v4, v3
	v_min_u32_e32 v4, 32, v4
	v_lshlrev_b64 v[2:3], v4, v[2:3]
	v_min_u32_e32 v2, 1, v2
	v_or_b32_e32 v2, v3, v2
	v_sub_nc_u32_e32 v3, 32, v4
	v_cvt_f32_u32_e32 v2, v2
	v_ldexp_f32 v2, v2, v3
	s_branch .LBB18_569
.LBB18_567:
	s_mov_b32 s19, -1
                                        ; implicit-def: $vgpr2
.LBB18_568:
	s_mov_b32 s21, 0
.LBB18_569:
	s_and_b32 vcc_lo, exec_lo, s21
	s_cbranch_vccz .LBB18_587
; %bb.570:
	s_cmp_lt_i32 s0, 27
	s_cbranch_scc1 .LBB18_573
; %bb.571:
	s_cmp_gt_i32 s0, 27
	s_cbranch_scc0 .LBB18_574
; %bb.572:
	global_load_dword v2, v[0:1], off
	s_mov_b32 s20, 0
	s_waitcnt vmcnt(0)
	v_cvt_f32_u32_e32 v2, v2
	s_branch .LBB18_575
.LBB18_573:
	s_mov_b32 s20, -1
                                        ; implicit-def: $vgpr2
	s_branch .LBB18_578
.LBB18_574:
	s_mov_b32 s20, -1
                                        ; implicit-def: $vgpr2
.LBB18_575:
	s_andn2_b32 vcc_lo, exec_lo, s20
	s_cbranch_vccnz .LBB18_577
; %bb.576:
	global_load_ushort v2, v[0:1], off
	s_waitcnt vmcnt(0)
	v_cvt_f32_u32_e32 v2, v2
.LBB18_577:
	s_mov_b32 s20, 0
.LBB18_578:
	s_andn2_b32 vcc_lo, exec_lo, s20
	s_cbranch_vccnz .LBB18_586
; %bb.579:
	global_load_ubyte v3, v[0:1], off
	s_mov_b32 s20, 0
	s_mov_b32 s21, exec_lo
	s_waitcnt vmcnt(0)
	v_cmpx_lt_i16_e32 0x7f, v3
	s_xor_b32 s21, exec_lo, s21
	s_cbranch_execz .LBB18_600
; %bb.580:
	s_mov_b32 s20, -1
	s_mov_b32 s22, exec_lo
	v_cmpx_eq_u16_e32 0x80, v3
; %bb.581:
	s_xor_b32 s20, exec_lo, -1
; %bb.582:
	s_or_b32 exec_lo, exec_lo, s22
	s_and_b32 s20, s20, exec_lo
	s_or_saveexec_b32 s21, s21
	v_mov_b32_e32 v2, 0x7f800001
	s_xor_b32 exec_lo, exec_lo, s21
	s_cbranch_execnz .LBB18_601
.LBB18_583:
	s_or_b32 exec_lo, exec_lo, s21
	s_and_saveexec_b32 s21, s20
	s_cbranch_execz .LBB18_585
.LBB18_584:
	v_and_b32_e32 v2, 0xffff, v3
	v_lshlrev_b32_e32 v3, 24, v3
	v_and_b32_e32 v4, 7, v2
	v_bfe_u32 v8, v2, 3, 4
	v_and_b32_e32 v3, 0x80000000, v3
	v_ffbh_u32_e32 v5, v4
	v_cmp_eq_u32_e32 vcc_lo, 0, v8
	v_min_u32_e32 v5, 32, v5
	v_subrev_nc_u32_e32 v6, 28, v5
	v_sub_nc_u32_e32 v5, 29, v5
	v_lshlrev_b32_e32 v2, v6, v2
	v_cndmask_b32_e32 v5, v8, v5, vcc_lo
	v_and_b32_e32 v2, 7, v2
	v_cndmask_b32_e32 v2, v4, v2, vcc_lo
	v_lshl_add_u32 v4, v5, 23, 0x3b800000
	v_lshlrev_b32_e32 v2, 20, v2
	v_or3_b32 v2, v3, v4, v2
.LBB18_585:
	s_or_b32 exec_lo, exec_lo, s21
.LBB18_586:
	s_mov_b32 s20, -1
.LBB18_587:
	s_mov_b32 s21, 0
.LBB18_588:
	s_and_b32 vcc_lo, exec_lo, s21
	s_cbranch_vccz .LBB18_623
; %bb.589:
	s_cmp_gt_i32 s0, 22
	s_cbranch_scc0 .LBB18_599
; %bb.590:
	s_cmp_lt_i32 s0, 24
	s_cbranch_scc1 .LBB18_602
; %bb.591:
	s_cmp_gt_i32 s0, 24
	s_cbranch_scc0 .LBB18_603
; %bb.592:
	global_load_ubyte v3, v[0:1], off
	s_mov_b32 s20, 0
	s_mov_b32 s21, exec_lo
	s_waitcnt vmcnt(0)
	v_cmpx_lt_i16_e32 0x7f, v3
	s_xor_b32 s21, exec_lo, s21
	s_cbranch_execz .LBB18_615
; %bb.593:
	s_mov_b32 s20, -1
	s_mov_b32 s22, exec_lo
	v_cmpx_eq_u16_e32 0x80, v3
; %bb.594:
	s_xor_b32 s20, exec_lo, -1
; %bb.595:
	s_or_b32 exec_lo, exec_lo, s22
	s_and_b32 s20, s20, exec_lo
	s_or_saveexec_b32 s21, s21
	v_mov_b32_e32 v2, 0x7f800001
	s_xor_b32 exec_lo, exec_lo, s21
	s_cbranch_execnz .LBB18_616
.LBB18_596:
	s_or_b32 exec_lo, exec_lo, s21
	s_and_saveexec_b32 s21, s20
	s_cbranch_execz .LBB18_598
.LBB18_597:
	v_and_b32_e32 v2, 0xffff, v3
	v_lshlrev_b32_e32 v3, 24, v3
	v_and_b32_e32 v4, 3, v2
	v_bfe_u32 v8, v2, 2, 5
	v_and_b32_e32 v3, 0x80000000, v3
	v_ffbh_u32_e32 v5, v4
	v_cmp_eq_u32_e32 vcc_lo, 0, v8
	v_min_u32_e32 v5, 32, v5
	v_subrev_nc_u32_e32 v6, 29, v5
	v_sub_nc_u32_e32 v5, 30, v5
	v_lshlrev_b32_e32 v2, v6, v2
	v_cndmask_b32_e32 v5, v8, v5, vcc_lo
	v_and_b32_e32 v2, 3, v2
	v_cndmask_b32_e32 v2, v4, v2, vcc_lo
	v_lshl_add_u32 v4, v5, 23, 0x37800000
	v_lshlrev_b32_e32 v2, 21, v2
	v_or3_b32 v2, v3, v4, v2
.LBB18_598:
	s_or_b32 exec_lo, exec_lo, s21
	s_mov_b32 s20, 0
	s_branch .LBB18_604
.LBB18_599:
	s_mov_b32 s21, -1
                                        ; implicit-def: $vgpr2
	s_branch .LBB18_610
.LBB18_600:
	s_or_saveexec_b32 s21, s21
	v_mov_b32_e32 v2, 0x7f800001
	s_xor_b32 exec_lo, exec_lo, s21
	s_cbranch_execz .LBB18_583
.LBB18_601:
	v_cmp_ne_u16_e32 vcc_lo, 0, v3
	v_mov_b32_e32 v2, 0
	s_andn2_b32 s20, s20, exec_lo
	s_and_b32 s22, vcc_lo, exec_lo
	s_or_b32 s20, s20, s22
	s_or_b32 exec_lo, exec_lo, s21
	s_and_saveexec_b32 s21, s20
	s_cbranch_execnz .LBB18_584
	s_branch .LBB18_585
.LBB18_602:
	s_mov_b32 s20, -1
                                        ; implicit-def: $vgpr2
	s_branch .LBB18_607
.LBB18_603:
	s_mov_b32 s20, -1
                                        ; implicit-def: $vgpr2
.LBB18_604:
	s_and_b32 vcc_lo, exec_lo, s20
	s_cbranch_vccz .LBB18_606
; %bb.605:
	global_load_ubyte v2, v[0:1], off
	s_waitcnt vmcnt(0)
	v_lshlrev_b32_e32 v2, 24, v2
	v_and_b32_e32 v3, 0x7f000000, v2
	v_ffbh_u32_e32 v4, v3
	v_add_nc_u32_e32 v6, 0x1000000, v3
	v_cmp_ne_u32_e32 vcc_lo, 0, v3
	v_min_u32_e32 v4, 32, v4
	v_sub_nc_u32_e64 v4, v4, 4 clamp
	v_lshlrev_b32_e32 v5, v4, v3
	v_lshlrev_b32_e32 v4, 23, v4
	v_lshrrev_b32_e32 v5, 4, v5
	v_sub_nc_u32_e32 v4, v5, v4
	v_ashrrev_i32_e32 v5, 8, v6
	v_add_nc_u32_e32 v4, 0x3c000000, v4
	v_and_or_b32 v4, 0x7f800000, v5, v4
	v_cndmask_b32_e32 v3, 0, v4, vcc_lo
	v_and_or_b32 v2, 0x80000000, v2, v3
.LBB18_606:
	s_mov_b32 s20, 0
.LBB18_607:
	s_andn2_b32 vcc_lo, exec_lo, s20
	s_cbranch_vccnz .LBB18_609
; %bb.608:
	global_load_ubyte v2, v[0:1], off
	s_waitcnt vmcnt(0)
	v_lshlrev_b32_e32 v3, 25, v2
	v_lshlrev_b16 v2, 8, v2
	v_lshrrev_b32_e32 v4, 4, v3
	v_and_or_b32 v5, 0x7f00, v2, 0.5
	v_cmp_gt_u32_e32 vcc_lo, 0x8000000, v3
	v_bfe_i32 v2, v2, 0, 16
	v_or_b32_e32 v4, 0x70000000, v4
	v_add_f32_e32 v5, -0.5, v5
	v_mul_f32_e32 v4, 0x7800000, v4
	v_cndmask_b32_e32 v3, v4, v5, vcc_lo
	v_and_or_b32 v2, 0x80000000, v2, v3
.LBB18_609:
	s_mov_b32 s21, 0
	s_mov_b32 s20, -1
.LBB18_610:
	s_andn2_b32 vcc_lo, exec_lo, s21
	s_cbranch_vccnz .LBB18_623
; %bb.611:
	s_cmp_gt_i32 s0, 14
	s_cbranch_scc0 .LBB18_614
; %bb.612:
	s_cmp_eq_u32 s0, 15
	s_cbranch_scc0 .LBB18_617
; %bb.613:
	global_load_ushort v2, v[0:1], off
	s_mov_b32 s20, -1
	s_mov_b32 s19, 0
	s_waitcnt vmcnt(0)
	v_lshlrev_b32_e32 v2, 16, v2
	s_branch .LBB18_618
.LBB18_614:
	s_mov_b32 s21, -1
                                        ; implicit-def: $vgpr2
	s_branch .LBB18_619
.LBB18_615:
	s_or_saveexec_b32 s21, s21
	v_mov_b32_e32 v2, 0x7f800001
	s_xor_b32 exec_lo, exec_lo, s21
	s_cbranch_execz .LBB18_596
.LBB18_616:
	v_cmp_ne_u16_e32 vcc_lo, 0, v3
	v_mov_b32_e32 v2, 0
	s_andn2_b32 s20, s20, exec_lo
	s_and_b32 s22, vcc_lo, exec_lo
	s_or_b32 s20, s20, s22
	s_or_b32 exec_lo, exec_lo, s21
	s_and_saveexec_b32 s21, s20
	s_cbranch_execnz .LBB18_597
	s_branch .LBB18_598
.LBB18_617:
	s_mov_b32 s19, -1
                                        ; implicit-def: $vgpr2
.LBB18_618:
	s_mov_b32 s21, 0
.LBB18_619:
	s_and_b32 vcc_lo, exec_lo, s21
	s_cbranch_vccz .LBB18_623
; %bb.620:
	s_cmp_eq_u32 s0, 11
	s_cbranch_scc0 .LBB18_622
; %bb.621:
	global_load_ubyte v2, v[0:1], off
	s_mov_b32 s19, 0
	s_mov_b32 s20, -1
	s_waitcnt vmcnt(0)
	v_cmp_ne_u16_e32 vcc_lo, 0, v2
	v_cndmask_b32_e64 v2, 0, 1.0, vcc_lo
	s_branch .LBB18_623
.LBB18_622:
	s_mov_b32 s19, -1
                                        ; implicit-def: $vgpr2
.LBB18_623:
	s_mov_b32 s21, 0
.LBB18_624:
	s_and_b32 vcc_lo, exec_lo, s21
	s_cbranch_vccz .LBB18_673
; %bb.625:
	s_cmp_lt_i32 s0, 5
	s_cbranch_scc1 .LBB18_630
; %bb.626:
	s_cmp_lt_i32 s0, 8
	s_cbranch_scc1 .LBB18_631
	;; [unrolled: 3-line block ×3, first 2 shown]
; %bb.628:
	s_cmp_gt_i32 s0, 9
	s_cbranch_scc0 .LBB18_633
; %bb.629:
	global_load_dwordx2 v[2:3], v[0:1], off
	s_mov_b32 s20, 0
	s_waitcnt vmcnt(0)
	v_cvt_f32_f64_e32 v2, v[2:3]
	s_branch .LBB18_634
.LBB18_630:
	s_mov_b32 s20, -1
                                        ; implicit-def: $vgpr2
	s_branch .LBB18_652
.LBB18_631:
	s_mov_b32 s20, -1
                                        ; implicit-def: $vgpr2
	s_branch .LBB18_640
.LBB18_632:
	s_mov_b32 s20, -1
                                        ; implicit-def: $vgpr2
	s_branch .LBB18_637
.LBB18_633:
	s_mov_b32 s20, -1
                                        ; implicit-def: $vgpr2
.LBB18_634:
	s_andn2_b32 vcc_lo, exec_lo, s20
	s_cbranch_vccnz .LBB18_636
; %bb.635:
	global_load_dword v2, v[0:1], off
.LBB18_636:
	s_mov_b32 s20, 0
.LBB18_637:
	s_andn2_b32 vcc_lo, exec_lo, s20
	s_cbranch_vccnz .LBB18_639
; %bb.638:
	global_load_dword v2, v[0:1], off
	s_waitcnt vmcnt(0)
	v_cvt_f32_f16_e32 v2, v2
.LBB18_639:
	s_mov_b32 s20, 0
.LBB18_640:
	s_andn2_b32 vcc_lo, exec_lo, s20
	s_cbranch_vccnz .LBB18_651
; %bb.641:
	s_cmp_lt_i32 s0, 6
	s_cbranch_scc1 .LBB18_644
; %bb.642:
	s_cmp_gt_i32 s0, 6
	s_cbranch_scc0 .LBB18_645
; %bb.643:
	global_load_dwordx2 v[2:3], v[0:1], off
	s_mov_b32 s20, 0
	s_waitcnt vmcnt(0)
	v_cvt_f32_f64_e32 v2, v[2:3]
	s_branch .LBB18_646
.LBB18_644:
	s_mov_b32 s20, -1
                                        ; implicit-def: $vgpr2
	s_branch .LBB18_649
.LBB18_645:
	s_mov_b32 s20, -1
                                        ; implicit-def: $vgpr2
.LBB18_646:
	s_andn2_b32 vcc_lo, exec_lo, s20
	s_cbranch_vccnz .LBB18_648
; %bb.647:
	global_load_dword v2, v[0:1], off
.LBB18_648:
	s_mov_b32 s20, 0
.LBB18_649:
	s_andn2_b32 vcc_lo, exec_lo, s20
	s_cbranch_vccnz .LBB18_651
; %bb.650:
	global_load_ushort v2, v[0:1], off
	s_waitcnt vmcnt(0)
	v_cvt_f32_f16_e32 v2, v2
.LBB18_651:
	s_mov_b32 s20, 0
.LBB18_652:
	s_andn2_b32 vcc_lo, exec_lo, s20
	s_cbranch_vccnz .LBB18_672
; %bb.653:
	s_cmp_lt_i32 s0, 2
	s_cbranch_scc1 .LBB18_657
; %bb.654:
	s_cmp_lt_i32 s0, 3
	s_cbranch_scc1 .LBB18_658
; %bb.655:
	s_cmp_gt_i32 s0, 3
	s_cbranch_scc0 .LBB18_659
; %bb.656:
	global_load_dwordx2 v[2:3], v[0:1], off
	s_mov_b32 s20, 0
	s_waitcnt vmcnt(0)
	v_xor_b32_e32 v4, v2, v3
	v_ffbh_i32_e32 v5, v3
	v_ashrrev_i32_e32 v4, 31, v4
	v_add_nc_u32_e32 v5, -1, v5
	v_add_nc_u32_e32 v4, 32, v4
	v_min_u32_e32 v4, v5, v4
	v_lshlrev_b64 v[2:3], v4, v[2:3]
	v_min_u32_e32 v2, 1, v2
	v_or_b32_e32 v2, v3, v2
	v_sub_nc_u32_e32 v3, 32, v4
	v_cvt_f32_i32_e32 v2, v2
	v_ldexp_f32 v2, v2, v3
	s_branch .LBB18_660
.LBB18_657:
	s_mov_b32 s20, -1
                                        ; implicit-def: $vgpr2
	s_branch .LBB18_666
.LBB18_658:
	s_mov_b32 s20, -1
                                        ; implicit-def: $vgpr2
	s_branch .LBB18_663
.LBB18_659:
	s_mov_b32 s20, -1
                                        ; implicit-def: $vgpr2
.LBB18_660:
	s_andn2_b32 vcc_lo, exec_lo, s20
	s_cbranch_vccnz .LBB18_662
; %bb.661:
	global_load_dword v2, v[0:1], off
	s_waitcnt vmcnt(0)
	v_cvt_f32_i32_e32 v2, v2
.LBB18_662:
	s_mov_b32 s20, 0
.LBB18_663:
	s_andn2_b32 vcc_lo, exec_lo, s20
	s_cbranch_vccnz .LBB18_665
; %bb.664:
	global_load_sshort v2, v[0:1], off
	s_waitcnt vmcnt(0)
	v_cvt_f32_i32_e32 v2, v2
.LBB18_665:
	s_mov_b32 s20, 0
.LBB18_666:
	s_andn2_b32 vcc_lo, exec_lo, s20
	s_cbranch_vccnz .LBB18_672
; %bb.667:
	s_cmp_gt_i32 s0, 0
	s_mov_b32 s0, 0
	s_cbranch_scc0 .LBB18_669
; %bb.668:
	global_load_sbyte v2, v[0:1], off
	s_waitcnt vmcnt(0)
	v_cvt_f32_i32_e32 v2, v2
	s_branch .LBB18_670
.LBB18_669:
	s_mov_b32 s0, -1
                                        ; implicit-def: $vgpr2
.LBB18_670:
	s_andn2_b32 vcc_lo, exec_lo, s0
	s_cbranch_vccnz .LBB18_672
; %bb.671:
	global_load_ubyte v0, v[0:1], off
	s_waitcnt vmcnt(0)
	v_cvt_f32_ubyte0_e32 v2, v0
.LBB18_672:
	s_mov_b32 s20, -1
.LBB18_673:
	s_andn2_b32 vcc_lo, exec_lo, s20
	s_cbranch_vccnz .LBB18_693
; %bb.674:
	s_waitcnt vmcnt(0)
	v_mul_f32_e64 v1, 0x3fb8aa3b, |v2|
	s_mov_b32 s20, exec_lo
                                        ; implicit-def: $vgpr0
	v_cmpx_ge_f32_e64 0x41000000, |v2|
	s_xor_b32 s20, exec_lo, s20
	s_cbranch_execz .LBB18_680
; %bb.675:
	v_fma_f32 v0, |v2|, 0.5, -2.0
	s_mov_b32 s0, 0x224cf950
	v_rndne_f32_e32 v5, v1
	v_fma_f32 v6, 0x3fb8aa3b, |v2|, -v1
	v_cmp_ngt_f32_e64 vcc_lo, 0xc2ce8ed0, |v2|
	v_fmaak_f32 v3, s0, v0, 0xa3c2be86
	v_cmp_nlt_f32_e64 s0, 0x42b17218, |v2|
	v_sub_f32_e32 v1, v1, v5
	v_fma_f32 v6, 0x32a5705f, |v2|, v6
	v_fmaak_f32 v4, v0, v3, 0xa24cf950
	v_add_f32_e32 v1, v1, v6
	v_add_f32_e32 v4, 0x25331f1f, v4
	v_exp_f32_e32 v1, v1
	v_fma_f32 v3, v0, v4, -v3
	v_add_f32_e32 v3, 0xa69f5554, v3
	v_fma_f32 v4, v0, v3, -v4
	v_add_f32_e32 v4, 0x2808ebf8, v4
	;; [unrolled: 2-line block ×25, first 2 shown]
	v_fma_f32 v0, v0, v3, -v4
	v_cvt_i32_f32_e32 v3, v5
	v_add_f32_e32 v0, 0x3e81531c, v0
	v_ldexp_f32 v1, v1, v3
	v_sub_f32_e32 v0, v0, v4
	v_cndmask_b32_e32 v3, 0, v1, vcc_lo
	v_cmp_ngt_f32_e32 vcc_lo, 0, v2
	v_mul_f32_e32 v0, 0.5, v0
	v_mul_f32_e64 v1, |v2|, v0
	v_cndmask_b32_e64 v2, 0x7f800000, v3, s0
                                        ; implicit-def: $vgpr0
	s_and_saveexec_b32 s0, vcc_lo
	s_xor_b32 s0, exec_lo, s0
; %bb.676:
	v_mul_f32_e32 v0, v2, v1
                                        ; implicit-def: $vgpr2
                                        ; implicit-def: $vgpr1
; %bb.677:
	s_andn2_saveexec_b32 s0, s0
; %bb.678:
	v_mul_f32_e64 v0, v1, -v2
; %bb.679:
	s_or_b32 exec_lo, exec_lo, s0
                                        ; implicit-def: $vgpr2
                                        ; implicit-def: $vgpr1
.LBB18_680:
	s_andn2_saveexec_b32 s20, s20
	s_cbranch_execz .LBB18_686
; %bb.681:
	v_and_b32_e32 v0, 0x7fffffff, v2
	s_mov_b32 s0, 0x230aab6e
	v_div_scale_f32 v3, null, v0, v0, 0x42000000
	v_div_scale_f32 v0, vcc_lo, 0x42000000, v0, 0x42000000
	v_rcp_f32_e32 v4, v3
	v_fma_f32 v5, -v3, v4, 1.0
	v_fmac_f32_e32 v4, v5, v4
	v_mul_f32_e32 v5, v0, v4
	v_fma_f32 v6, -v3, v5, v0
	v_fmac_f32_e32 v5, v6, v4
	v_fma_f32 v6, 0x3fb8aa3b, |v2|, -v1
	v_fma_f32 v0, -v3, v5, v0
	v_fma_f32 v6, 0x32a5705f, |v2|, v6
	v_div_fmas_f32 v0, v0, v4, v5
	v_rndne_f32_e32 v5, v1
	v_cmp_ngt_f32_e64 vcc_lo, 0xc2ce8ed0, |v2|
	v_div_fixup_f32 v0, v0, |v2|, 0x42000000
	v_sub_f32_e32 v1, v1, v5
	v_cvt_i32_f32_e32 v5, v5
	v_add_f32_e32 v0, -2.0, v0
	v_add_f32_e32 v1, v1, v6
	v_fmaak_f32 v3, s0, v0, 0x22a2dc57
	v_exp_f32_e32 v1, v1
	v_cmp_nlt_f32_e64 s0, 0x42b17218, |v2|
	v_fmaak_f32 v4, v0, v3, 0xa30aab6e
	v_add_f32_e32 v4, 0xa456751e, v4
	v_ldexp_f32 v1, v1, v5
	v_fma_f32 v3, v0, v4, -v3
	v_cndmask_b32_e32 v1, 0, v1, vcc_lo
	v_add_f32_e32 v3, 0xa4140365, v3
	v_cndmask_b32_e64 v1, 0x7f800000, v1, s0
	s_mov_b32 s0, exec_lo
	v_fma_f32 v4, v0, v3, -v4
	v_add_f32_e32 v4, 0x25aac8b0, v4
	v_fma_f32 v3, v0, v4, -v3
	v_add_f32_e32 v3, 0x25beb473, v3
	;; [unrolled: 2-line block ×21, first 2 shown]
	v_sub_f32_e32 v3, v0, v4
	v_mul_f32_e64 v4, 0x4f800000, |v2|
                                        ; implicit-def: $vgpr0
	v_cmpx_ngt_f32_e32 0, v2
	s_xor_b32 s21, exec_lo, s0
	s_cbranch_execz .LBB18_683
; %bb.682:
	v_cmp_gt_f32_e64 vcc_lo, 0xf800000, |v2|
	v_mul_f32_e32 v3, 0.5, v3
	v_cndmask_b32_e64 v0, |v2|, v4, vcc_lo
	v_mul_f32_e32 v1, v1, v3
	v_sqrt_f32_e32 v2, v0
	v_add_nc_u32_e32 v4, -1, v2
	v_add_nc_u32_e32 v5, 1, v2
	v_fma_f32 v6, -v4, v2, v0
	v_fma_f32 v8, -v5, v2, v0
	v_cmp_ge_f32_e64 s0, 0, v6
	v_cndmask_b32_e64 v2, v2, v4, s0
	v_cmp_lt_f32_e64 s0, 0, v8
	v_cndmask_b32_e64 v2, v2, v5, s0
	v_mul_f32_e32 v4, 0x37800000, v2
	v_cndmask_b32_e32 v2, v2, v4, vcc_lo
	v_cmp_class_f32_e64 vcc_lo, v0, 0x260
	v_cndmask_b32_e32 v0, v2, v0, vcc_lo
	v_div_scale_f32 v2, null, v0, v0, v1
	v_rcp_f32_e32 v3, v2
	v_fma_f32 v4, -v2, v3, 1.0
	v_fmac_f32_e32 v3, v4, v3
	v_div_scale_f32 v4, vcc_lo, v1, v0, v1
	v_mul_f32_e32 v5, v4, v3
	v_fma_f32 v6, -v2, v5, v4
	v_fmac_f32_e32 v5, v6, v3
	v_fma_f32 v2, -v2, v5, v4
                                        ; implicit-def: $vgpr4
	v_div_fmas_f32 v2, v2, v3, v5
                                        ; implicit-def: $vgpr3
	v_div_fixup_f32 v0, v2, v0, v1
                                        ; implicit-def: $vgpr2
                                        ; implicit-def: $vgpr1
.LBB18_683:
	s_andn2_saveexec_b32 s21, s21
	s_cbranch_execz .LBB18_685
; %bb.684:
	v_cmp_gt_f32_e64 vcc_lo, 0xf800000, |v2|
	v_mul_f32_e32 v3, -0.5, v3
	v_cndmask_b32_e64 v0, |v2|, v4, vcc_lo
	v_mul_f32_e32 v1, v1, v3
	v_sqrt_f32_e32 v2, v0
	v_add_nc_u32_e32 v4, -1, v2
	v_add_nc_u32_e32 v5, 1, v2
	v_fma_f32 v6, -v4, v2, v0
	v_fma_f32 v8, -v5, v2, v0
	v_cmp_ge_f32_e64 s0, 0, v6
	v_cndmask_b32_e64 v2, v2, v4, s0
	v_cmp_lt_f32_e64 s0, 0, v8
	v_cndmask_b32_e64 v2, v2, v5, s0
	v_mul_f32_e32 v4, 0x37800000, v2
	v_cndmask_b32_e32 v2, v2, v4, vcc_lo
	v_cmp_class_f32_e64 vcc_lo, v0, 0x260
	v_cndmask_b32_e32 v0, v2, v0, vcc_lo
	v_div_scale_f32 v2, null, v0, v0, v1
	v_rcp_f32_e32 v3, v2
	v_fma_f32 v4, -v2, v3, 1.0
	v_fmac_f32_e32 v3, v4, v3
	v_div_scale_f32 v4, vcc_lo, v1, v0, v1
	v_mul_f32_e32 v5, v4, v3
	v_fma_f32 v6, -v2, v5, v4
	v_fmac_f32_e32 v5, v6, v3
	v_fma_f32 v2, -v2, v5, v4
	v_div_fmas_f32 v2, v2, v3, v5
	v_div_fixup_f32 v0, v2, v0, v1
.LBB18_685:
	s_or_b32 exec_lo, exec_lo, s21
.LBB18_686:
	s_or_b32 exec_lo, exec_lo, s20
	v_mul_lo_u32 v1, v7, s2
	s_and_b32 s20, s1, 0xff
	s_cmp_lt_i32 s20, 11
	v_ashrrev_i32_e32 v3, 31, v1
	v_add_co_u32 v2, vcc_lo, s8, v1
	v_add_co_ci_u32_e64 v3, null, s9, v3, vcc_lo
	s_cbranch_scc1 .LBB18_694
; %bb.687:
	s_and_b32 s21, 0xffff, s20
	s_cmp_gt_i32 s21, 25
	s_cbranch_scc0 .LBB18_695
; %bb.688:
	s_cmp_gt_i32 s21, 28
	s_cbranch_scc0 .LBB18_696
; %bb.689:
	;; [unrolled: 3-line block ×4, first 2 shown]
	s_mov_b32 s23, 0
	s_mov_b32 s0, -1
	s_cmp_eq_u32 s21, 46
	s_mov_b32 s22, 0
	s_cbranch_scc0 .LBB18_699
; %bb.692:
	v_bfe_u32 v1, v0, 16, 1
	v_cmp_o_f32_e32 vcc_lo, v0, v0
	v_mov_b32_e32 v4, 0x7fc0
	s_mov_b32 s22, -1
	s_mov_b32 s0, 0
	v_add3_u32 v1, v0, v1, 0x7fff
	v_cndmask_b32_sdwa v1, v4, v1, vcc_lo dst_sel:DWORD dst_unused:UNUSED_PAD src0_sel:DWORD src1_sel:WORD_1
	global_store_dword v[2:3], v1, off
	s_branch .LBB18_699
.LBB18_693:
	s_mov_b32 s20, 0
	s_mov_b32 s0, s16
	s_branch .LBB18_810
.LBB18_694:
	s_mov_b32 s21, -1
	s_mov_b32 s22, 0
	s_mov_b32 s0, s16
	s_branch .LBB18_768
.LBB18_695:
	s_mov_b32 s23, -1
	s_mov_b32 s22, 0
	s_mov_b32 s0, s16
	s_branch .LBB18_726
.LBB18_696:
	s_mov_b32 s23, -1
	s_mov_b32 s22, 0
	s_mov_b32 s0, s16
	s_branch .LBB18_709
.LBB18_697:
	s_mov_b32 s23, -1
	s_mov_b32 s22, 0
	s_mov_b32 s0, s16
	s_branch .LBB18_705
.LBB18_698:
	s_mov_b32 s23, -1
	s_mov_b32 s22, 0
	s_mov_b32 s0, s16
.LBB18_699:
	s_and_b32 vcc_lo, exec_lo, s23
	s_cbranch_vccz .LBB18_704
; %bb.700:
	s_cmp_eq_u32 s21, 44
	s_mov_b32 s0, -1
	s_cbranch_scc0 .LBB18_704
; %bb.701:
	v_bfe_u32 v4, v0, 23, 8
	v_mov_b32_e32 v1, 0xff
	s_mov_b32 s22, exec_lo
	v_cmpx_ne_u32_e32 0xff, v4
	s_cbranch_execz .LBB18_703
; %bb.702:
	v_and_b32_e32 v1, 0x400000, v0
	v_and_or_b32 v4, 0x3fffff, v0, v4
	v_cmp_ne_u32_e32 vcc_lo, 0, v1
	v_cmp_ne_u32_e64 s0, 0, v4
	v_lshrrev_b32_e32 v1, 23, v0
	s_and_b32 s0, vcc_lo, s0
	v_cndmask_b32_e64 v4, 0, 1, s0
	v_add_nc_u32_e32 v1, v1, v4
.LBB18_703:
	s_or_b32 exec_lo, exec_lo, s22
	s_mov_b32 s22, -1
	s_mov_b32 s0, 0
	global_store_byte v[2:3], v1, off
.LBB18_704:
	s_mov_b32 s23, 0
.LBB18_705:
	s_and_b32 vcc_lo, exec_lo, s23
	s_cbranch_vccz .LBB18_708
; %bb.706:
	s_cmp_eq_u32 s21, 29
	s_mov_b32 s0, -1
	s_cbranch_scc0 .LBB18_708
; %bb.707:
	v_trunc_f32_e32 v1, v0
	s_mov_b32 s22, -1
	s_mov_b32 s0, 0
	s_mov_b32 s23, 0
	v_mul_f32_e32 v4, 0x2f800000, v1
	v_floor_f32_e32 v4, v4
	v_fmamk_f32 v1, v4, 0xcf800000, v1
	v_cvt_u32_f32_e32 v5, v4
	v_cvt_u32_f32_e32 v4, v1
	global_store_dwordx2 v[2:3], v[4:5], off
	s_branch .LBB18_709
.LBB18_708:
	s_mov_b32 s23, 0
.LBB18_709:
	s_and_b32 vcc_lo, exec_lo, s23
	s_cbranch_vccz .LBB18_725
; %bb.710:
	s_cmp_lt_i32 s21, 27
	s_mov_b32 s22, -1
	s_cbranch_scc1 .LBB18_716
; %bb.711:
	v_cvt_u32_f32_e32 v1, v0
	s_cmp_gt_i32 s21, 27
	s_cbranch_scc0 .LBB18_713
; %bb.712:
	s_mov_b32 s22, 0
	global_store_dword v[2:3], v1, off
.LBB18_713:
	s_andn2_b32 vcc_lo, exec_lo, s22
	s_cbranch_vccnz .LBB18_715
; %bb.714:
	global_store_short v[2:3], v1, off
.LBB18_715:
	s_mov_b32 s22, 0
.LBB18_716:
	s_andn2_b32 vcc_lo, exec_lo, s22
	s_cbranch_vccnz .LBB18_724
; %bb.717:
	v_and_b32_e32 v1, 0x7fffffff, v0
	v_mov_b32_e32 v4, 0x80
	s_mov_b32 s22, exec_lo
	v_cmpx_gt_u32_e32 0x43800000, v1
	s_cbranch_execz .LBB18_723
; %bb.718:
	v_cmp_lt_u32_e32 vcc_lo, 0x3bffffff, v1
	s_mov_b32 s23, 0
                                        ; implicit-def: $vgpr1
	s_and_saveexec_b32 s24, vcc_lo
	s_xor_b32 s24, exec_lo, s24
	s_cbranch_execz .LBB18_825
; %bb.719:
	v_bfe_u32 v1, v0, 20, 1
	s_mov_b32 s23, exec_lo
	v_add3_u32 v1, v0, v1, 0x487ffff
	v_lshrrev_b32_e32 v1, 20, v1
	s_andn2_saveexec_b32 s24, s24
	s_cbranch_execnz .LBB18_826
.LBB18_720:
	s_or_b32 exec_lo, exec_lo, s24
	v_mov_b32_e32 v4, 0
	s_and_saveexec_b32 s24, s23
.LBB18_721:
	v_lshrrev_b32_e32 v4, 24, v0
	v_and_or_b32 v4, 0x80, v4, v1
.LBB18_722:
	s_or_b32 exec_lo, exec_lo, s24
.LBB18_723:
	s_or_b32 exec_lo, exec_lo, s22
	global_store_byte v[2:3], v4, off
.LBB18_724:
	s_mov_b32 s22, -1
.LBB18_725:
	s_mov_b32 s23, 0
.LBB18_726:
	s_and_b32 vcc_lo, exec_lo, s23
	s_cbranch_vccz .LBB18_767
; %bb.727:
	s_cmp_gt_i32 s21, 22
	s_mov_b32 s23, -1
	s_cbranch_scc0 .LBB18_759
; %bb.728:
	s_cmp_lt_i32 s21, 24
	s_mov_b32 s22, -1
	s_cbranch_scc1 .LBB18_748
; %bb.729:
	s_cmp_gt_i32 s21, 24
	s_cbranch_scc0 .LBB18_737
; %bb.730:
	v_and_b32_e32 v1, 0x7fffffff, v0
	v_mov_b32_e32 v4, 0x80
	s_mov_b32 s22, exec_lo
	v_cmpx_gt_u32_e32 0x47800000, v1
	s_cbranch_execz .LBB18_736
; %bb.731:
	v_cmp_lt_u32_e32 vcc_lo, 0x37ffffff, v1
	s_mov_b32 s23, 0
                                        ; implicit-def: $vgpr1
	s_and_saveexec_b32 s24, vcc_lo
	s_xor_b32 s24, exec_lo, s24
	s_cbranch_execz .LBB18_828
; %bb.732:
	v_bfe_u32 v1, v0, 21, 1
	s_mov_b32 s23, exec_lo
	v_add3_u32 v1, v0, v1, 0x88fffff
	v_lshrrev_b32_e32 v1, 21, v1
	s_andn2_saveexec_b32 s24, s24
	s_cbranch_execnz .LBB18_829
.LBB18_733:
	s_or_b32 exec_lo, exec_lo, s24
	v_mov_b32_e32 v4, 0
	s_and_saveexec_b32 s24, s23
.LBB18_734:
	v_lshrrev_b32_e32 v4, 24, v0
	v_and_or_b32 v4, 0x80, v4, v1
.LBB18_735:
	s_or_b32 exec_lo, exec_lo, s24
.LBB18_736:
	s_or_b32 exec_lo, exec_lo, s22
	s_mov_b32 s22, 0
	global_store_byte v[2:3], v4, off
.LBB18_737:
	s_and_b32 vcc_lo, exec_lo, s22
	s_cbranch_vccz .LBB18_747
; %bb.738:
	v_and_b32_e32 v4, 0x7fffffff, v0
	s_mov_b32 s22, exec_lo
                                        ; implicit-def: $vgpr1
	v_cmpx_gt_u32_e32 0x43f00000, v4
	s_xor_b32 s22, exec_lo, s22
	s_cbranch_execz .LBB18_744
; %bb.739:
	s_mov_b32 s23, exec_lo
                                        ; implicit-def: $vgpr1
	v_cmpx_lt_u32_e32 0x3c7fffff, v4
	s_xor_b32 s23, exec_lo, s23
; %bb.740:
	v_bfe_u32 v1, v0, 20, 1
	v_add3_u32 v1, v0, v1, 0x407ffff
	v_and_b32_e32 v4, 0xff00000, v1
	v_lshrrev_b32_e32 v1, 20, v1
	v_cmp_ne_u32_e32 vcc_lo, 0x7f00000, v4
	v_cndmask_b32_e32 v1, 0x7e, v1, vcc_lo
; %bb.741:
	s_andn2_saveexec_b32 s23, s23
; %bb.742:
	v_add_f32_e64 v1, 0x46800000, |v0|
; %bb.743:
	s_or_b32 exec_lo, exec_lo, s23
                                        ; implicit-def: $vgpr4
.LBB18_744:
	s_andn2_saveexec_b32 s22, s22
; %bb.745:
	v_mov_b32_e32 v1, 0x7f
	v_cmp_lt_u32_e32 vcc_lo, 0x7f800000, v4
	v_cndmask_b32_e32 v1, 0x7e, v1, vcc_lo
; %bb.746:
	s_or_b32 exec_lo, exec_lo, s22
	v_lshrrev_b32_e32 v4, 24, v0
	v_and_or_b32 v1, 0x80, v4, v1
	global_store_byte v[2:3], v1, off
.LBB18_747:
	s_mov_b32 s22, 0
.LBB18_748:
	s_andn2_b32 vcc_lo, exec_lo, s22
	s_cbranch_vccnz .LBB18_758
; %bb.749:
	v_and_b32_e32 v4, 0x7fffffff, v0
	s_mov_b32 s22, exec_lo
                                        ; implicit-def: $vgpr1
	v_cmpx_gt_u32_e32 0x47800000, v4
	s_xor_b32 s22, exec_lo, s22
	s_cbranch_execz .LBB18_755
; %bb.750:
	s_mov_b32 s23, exec_lo
                                        ; implicit-def: $vgpr1
	v_cmpx_lt_u32_e32 0x387fffff, v4
	s_xor_b32 s23, exec_lo, s23
; %bb.751:
	v_bfe_u32 v1, v0, 21, 1
	v_add3_u32 v1, v0, v1, 0x80fffff
	v_lshrrev_b32_e32 v1, 21, v1
; %bb.752:
	s_andn2_saveexec_b32 s23, s23
; %bb.753:
	v_add_f32_e64 v1, 0x43000000, |v0|
; %bb.754:
	s_or_b32 exec_lo, exec_lo, s23
                                        ; implicit-def: $vgpr4
.LBB18_755:
	s_andn2_saveexec_b32 s22, s22
; %bb.756:
	v_mov_b32_e32 v1, 0x7f
	v_cmp_lt_u32_e32 vcc_lo, 0x7f800000, v4
	v_cndmask_b32_e32 v1, 0x7c, v1, vcc_lo
; %bb.757:
	s_or_b32 exec_lo, exec_lo, s22
	v_lshrrev_b32_e32 v4, 24, v0
	v_and_or_b32 v1, 0x80, v4, v1
	global_store_byte v[2:3], v1, off
.LBB18_758:
	s_mov_b32 s23, 0
	s_mov_b32 s22, -1
.LBB18_759:
	s_andn2_b32 vcc_lo, exec_lo, s23
	s_cbranch_vccnz .LBB18_767
; %bb.760:
	s_cmp_gt_i32 s21, 14
	s_mov_b32 s23, -1
	s_cbranch_scc0 .LBB18_764
; %bb.761:
	s_cmp_eq_u32 s21, 15
	s_mov_b32 s0, -1
	s_cbranch_scc0 .LBB18_763
; %bb.762:
	v_bfe_u32 v1, v0, 16, 1
	v_cmp_o_f32_e32 vcc_lo, v0, v0
	v_mov_b32_e32 v4, 0x7fc0
	s_mov_b32 s22, -1
	s_mov_b32 s0, 0
	v_add3_u32 v1, v0, v1, 0x7fff
	v_cndmask_b32_sdwa v1, v4, v1, vcc_lo dst_sel:DWORD dst_unused:UNUSED_PAD src0_sel:DWORD src1_sel:WORD_1
	global_store_short v[2:3], v1, off
.LBB18_763:
	s_mov_b32 s23, 0
.LBB18_764:
	s_and_b32 vcc_lo, exec_lo, s23
	s_cbranch_vccz .LBB18_767
; %bb.765:
	s_cmp_eq_u32 s21, 11
	s_mov_b32 s0, -1
	s_cbranch_scc0 .LBB18_767
; %bb.766:
	v_cmp_neq_f32_e32 vcc_lo, 0, v0
	s_mov_b32 s0, 0
	s_mov_b32 s22, -1
	v_cndmask_b32_e64 v1, 0, 1, vcc_lo
	global_store_byte v[2:3], v1, off
.LBB18_767:
	s_mov_b32 s21, 0
.LBB18_768:
	s_and_b32 vcc_lo, exec_lo, s21
	s_cbranch_vccz .LBB18_807
; %bb.769:
	s_and_b32 s20, 0xffff, s20
	s_mov_b32 s21, -1
	s_cmp_lt_i32 s20, 5
	s_cbranch_scc1 .LBB18_790
; %bb.770:
	s_cmp_lt_i32 s20, 8
	s_cbranch_scc1 .LBB18_780
; %bb.771:
	;; [unrolled: 3-line block ×3, first 2 shown]
	s_cmp_gt_i32 s20, 9
	s_cbranch_scc0 .LBB18_774
; %bb.773:
	v_cvt_f64_f32_e32 v[8:9], v0
	v_mov_b32_e32 v10, 0
	s_mov_b32 s21, 0
	v_mov_b32_e32 v11, v10
	global_store_dwordx4 v[2:3], v[8:11], off
.LBB18_774:
	s_andn2_b32 vcc_lo, exec_lo, s21
	s_cbranch_vccnz .LBB18_776
; %bb.775:
	v_mov_b32_e32 v1, 0
	global_store_dwordx2 v[2:3], v[0:1], off
.LBB18_776:
	s_mov_b32 s21, 0
.LBB18_777:
	s_andn2_b32 vcc_lo, exec_lo, s21
	s_cbranch_vccnz .LBB18_779
; %bb.778:
	v_cvt_f16_f32_e32 v1, v0
	v_and_b32_e32 v1, 0xffff, v1
	global_store_dword v[2:3], v1, off
.LBB18_779:
	s_mov_b32 s21, 0
.LBB18_780:
	s_andn2_b32 vcc_lo, exec_lo, s21
	s_cbranch_vccnz .LBB18_789
; %bb.781:
	s_cmp_lt_i32 s20, 6
	s_mov_b32 s21, -1
	s_cbranch_scc1 .LBB18_787
; %bb.782:
	s_cmp_gt_i32 s20, 6
	s_cbranch_scc0 .LBB18_784
; %bb.783:
	v_cvt_f64_f32_e32 v[4:5], v0
	s_mov_b32 s21, 0
	global_store_dwordx2 v[2:3], v[4:5], off
.LBB18_784:
	s_andn2_b32 vcc_lo, exec_lo, s21
	s_cbranch_vccnz .LBB18_786
; %bb.785:
	global_store_dword v[2:3], v0, off
.LBB18_786:
	s_mov_b32 s21, 0
.LBB18_787:
	s_andn2_b32 vcc_lo, exec_lo, s21
	s_cbranch_vccnz .LBB18_789
; %bb.788:
	v_cvt_f16_f32_e32 v1, v0
	global_store_short v[2:3], v1, off
.LBB18_789:
	s_mov_b32 s21, 0
.LBB18_790:
	s_andn2_b32 vcc_lo, exec_lo, s21
	s_cbranch_vccnz .LBB18_806
; %bb.791:
	s_cmp_lt_i32 s20, 2
	s_mov_b32 s21, -1
	s_cbranch_scc1 .LBB18_801
; %bb.792:
	s_cmp_lt_i32 s20, 3
	s_cbranch_scc1 .LBB18_798
; %bb.793:
	s_cmp_gt_i32 s20, 3
	s_cbranch_scc0 .LBB18_795
; %bb.794:
	v_trunc_f32_e32 v1, v0
	s_mov_b32 s21, 0
	v_mul_f32_e64 v4, 0x2f800000, |v1|
	v_floor_f32_e32 v4, v4
	v_fma_f32 v5, 0xcf800000, v4, |v1|
	v_ashrrev_i32_e32 v1, 31, v1
	v_cvt_u32_f32_e32 v4, v4
	v_cvt_u32_f32_e32 v5, v5
	v_xor_b32_e32 v6, v4, v1
	v_xor_b32_e32 v5, v5, v1
	v_sub_co_u32 v4, vcc_lo, v5, v1
	v_sub_co_ci_u32_e64 v5, null, v6, v1, vcc_lo
	global_store_dwordx2 v[2:3], v[4:5], off
.LBB18_795:
	s_andn2_b32 vcc_lo, exec_lo, s21
	s_cbranch_vccnz .LBB18_797
; %bb.796:
	v_cvt_i32_f32_e32 v1, v0
	global_store_dword v[2:3], v1, off
.LBB18_797:
	s_mov_b32 s21, 0
.LBB18_798:
	s_andn2_b32 vcc_lo, exec_lo, s21
	s_cbranch_vccnz .LBB18_800
; %bb.799:
	v_cvt_i32_f32_e32 v1, v0
	global_store_short v[2:3], v1, off
.LBB18_800:
	s_mov_b32 s21, 0
.LBB18_801:
	s_andn2_b32 vcc_lo, exec_lo, s21
	s_cbranch_vccnz .LBB18_806
; %bb.802:
	s_cmp_gt_i32 s20, 0
	s_mov_b32 s20, -1
	s_cbranch_scc0 .LBB18_804
; %bb.803:
	v_cvt_i32_f32_e32 v1, v0
	s_mov_b32 s20, 0
	global_store_byte v[2:3], v1, off
.LBB18_804:
	s_andn2_b32 vcc_lo, exec_lo, s20
	s_cbranch_vccnz .LBB18_806
; %bb.805:
	v_trunc_f32_e32 v0, v0
	v_mul_f32_e64 v1, 0x2f800000, |v0|
	v_floor_f32_e32 v1, v1
	v_fma_f32 v1, 0xcf800000, v1, |v0|
	v_ashrrev_i32_e32 v0, 31, v0
	v_cvt_u32_f32_e32 v1, v1
	v_xor_b32_e32 v1, v1, v0
	v_sub_nc_u32_e32 v0, v1, v0
	global_store_byte v[2:3], v0, off
.LBB18_806:
	s_mov_b32 s22, -1
.LBB18_807:
	s_andn2_b32 vcc_lo, exec_lo, s22
	s_cbranch_vccnz .LBB18_809
; %bb.808:
	v_add_nc_u32_e32 v7, 0x80, v7
	s_mov_b32 s20, -1
	s_branch .LBB18_811
.LBB18_809:
	s_mov_b32 s20, 0
.LBB18_810:
                                        ; implicit-def: $vgpr7
.LBB18_811:
	s_andn2_b32 s21, s16, exec_lo
	s_and_b32 s0, s0, exec_lo
	s_andn2_b32 s22, s15, exec_lo
	s_and_b32 s23, s19, exec_lo
	s_or_b32 s19, s21, s0
	s_or_b32 s0, s22, s23
	s_orn2_b32 s20, s20, exec_lo
.LBB18_812:
	s_or_b32 exec_lo, exec_lo, s18
	s_mov_b32 s21, 0
	s_mov_b32 s22, 0
	;; [unrolled: 1-line block ×3, first 2 shown]
                                        ; implicit-def: $vgpr0_vgpr1
                                        ; implicit-def: $vgpr4
	s_and_saveexec_b32 s18, s20
	s_cbranch_execz .LBB18_897
; %bb.813:
	v_cmp_gt_i32_e32 vcc_lo, s12, v7
	s_mov_b32 s20, 0
	s_mov_b32 s21, s0
	;; [unrolled: 1-line block ×3, first 2 shown]
                                        ; implicit-def: $vgpr0_vgpr1
                                        ; implicit-def: $vgpr4
	s_and_saveexec_b32 s12, vcc_lo
	s_cbranch_execz .LBB18_896
; %bb.814:
	v_mul_lo_u32 v0, v7, s3
	s_and_b32 s20, 0xffff, s5
	s_cmp_lt_i32 s20, 11
	v_ashrrev_i32_e32 v1, 31, v0
	v_add_co_u32 v0, vcc_lo, s10, v0
	v_add_co_ci_u32_e64 v1, null, s11, v1, vcc_lo
	s_cbranch_scc1 .LBB18_821
; %bb.815:
	s_cmp_gt_i32 s20, 25
	s_cbranch_scc0 .LBB18_822
; %bb.816:
	s_cmp_gt_i32 s20, 28
	s_cbranch_scc0 .LBB18_823
; %bb.817:
	s_cmp_gt_i32 s20, 43
	s_cbranch_scc0 .LBB18_824
; %bb.818:
	s_cmp_gt_i32 s20, 45
	s_cbranch_scc0 .LBB18_827
; %bb.819:
	s_cmp_eq_u32 s20, 46
	s_cbranch_scc0 .LBB18_830
; %bb.820:
	global_load_dword v2, v[0:1], off
	s_mov_b32 s21, 0
	s_mov_b32 s23, -1
	s_waitcnt vmcnt(0)
	v_lshlrev_b32_e32 v4, 16, v2
	s_branch .LBB18_832
.LBB18_821:
	s_mov_b32 s20, -1
	s_mov_b32 s21, s0
                                        ; implicit-def: $vgpr4
	s_branch .LBB18_895
.LBB18_822:
	s_mov_b32 s24, -1
	s_mov_b32 s21, s0
                                        ; implicit-def: $vgpr4
	s_branch .LBB18_861
.LBB18_823:
	s_mov_b32 s24, -1
	s_mov_b32 s21, s0
                                        ; implicit-def: $vgpr4
	s_branch .LBB18_842
.LBB18_824:
	s_mov_b32 s24, -1
	s_mov_b32 s21, s0
                                        ; implicit-def: $vgpr4
	s_branch .LBB18_837
.LBB18_825:
	s_andn2_saveexec_b32 s24, s24
	s_cbranch_execz .LBB18_720
.LBB18_826:
	v_add_f32_e64 v1, 0x46000000, |v0|
	s_andn2_b32 s23, s23, exec_lo
	v_and_b32_e32 v1, 0xff, v1
	v_cmp_ne_u32_e32 vcc_lo, 0, v1
	s_and_b32 s25, vcc_lo, exec_lo
	s_or_b32 s23, s23, s25
	s_or_b32 exec_lo, exec_lo, s24
	v_mov_b32_e32 v4, 0
	s_and_saveexec_b32 s24, s23
	s_cbranch_execnz .LBB18_721
	s_branch .LBB18_722
.LBB18_827:
	s_mov_b32 s24, -1
	s_mov_b32 s21, s0
	s_branch .LBB18_831
.LBB18_828:
	s_andn2_saveexec_b32 s24, s24
	s_cbranch_execz .LBB18_733
.LBB18_829:
	v_add_f32_e64 v1, 0x42800000, |v0|
	s_andn2_b32 s23, s23, exec_lo
	v_and_b32_e32 v1, 0xff, v1
	v_cmp_ne_u32_e32 vcc_lo, 0, v1
	s_and_b32 s25, vcc_lo, exec_lo
	s_or_b32 s23, s23, s25
	s_or_b32 exec_lo, exec_lo, s24
	v_mov_b32_e32 v4, 0
	s_and_saveexec_b32 s24, s23
	s_cbranch_execnz .LBB18_734
	s_branch .LBB18_735
.LBB18_830:
	s_mov_b32 s21, -1
.LBB18_831:
                                        ; implicit-def: $vgpr4
.LBB18_832:
	s_and_b32 vcc_lo, exec_lo, s24
	s_cbranch_vccz .LBB18_836
; %bb.833:
	s_cmp_eq_u32 s20, 44
	s_cbranch_scc0 .LBB18_835
; %bb.834:
	global_load_ubyte v2, v[0:1], off
	s_mov_b32 s21, 0
	s_mov_b32 s23, -1
	s_waitcnt vmcnt(0)
	v_lshlrev_b32_e32 v3, 23, v2
	v_cmp_ne_u32_e32 vcc_lo, 0xff, v2
	v_cndmask_b32_e32 v3, 0x7f800001, v3, vcc_lo
	v_cmp_ne_u32_e32 vcc_lo, 0, v2
	v_cndmask_b32_e32 v4, 0x400000, v3, vcc_lo
	s_branch .LBB18_836
.LBB18_835:
	s_mov_b32 s21, -1
                                        ; implicit-def: $vgpr4
.LBB18_836:
	s_mov_b32 s24, 0
.LBB18_837:
	s_and_b32 vcc_lo, exec_lo, s24
	s_cbranch_vccz .LBB18_841
; %bb.838:
	s_cmp_eq_u32 s20, 29
	s_cbranch_scc0 .LBB18_840
; %bb.839:
	global_load_dwordx2 v[2:3], v[0:1], off
	s_mov_b32 s21, 0
	s_mov_b32 s23, -1
	s_mov_b32 s24, 0
	s_waitcnt vmcnt(0)
	v_ffbh_u32_e32 v4, v3
	v_min_u32_e32 v4, 32, v4
	v_lshlrev_b64 v[2:3], v4, v[2:3]
	v_min_u32_e32 v2, 1, v2
	v_or_b32_e32 v2, v3, v2
	v_sub_nc_u32_e32 v3, 32, v4
	v_cvt_f32_u32_e32 v2, v2
	v_ldexp_f32 v4, v2, v3
	s_branch .LBB18_842
.LBB18_840:
	s_mov_b32 s21, -1
                                        ; implicit-def: $vgpr4
.LBB18_841:
	s_mov_b32 s24, 0
.LBB18_842:
	s_and_b32 vcc_lo, exec_lo, s24
	s_cbranch_vccz .LBB18_860
; %bb.843:
	s_cmp_lt_i32 s20, 27
	s_cbranch_scc1 .LBB18_846
; %bb.844:
	s_cmp_gt_i32 s20, 27
	s_cbranch_scc0 .LBB18_847
; %bb.845:
	global_load_dword v2, v[0:1], off
	s_mov_b32 s23, 0
	s_waitcnt vmcnt(0)
	v_cvt_f32_u32_e32 v4, v2
	s_branch .LBB18_848
.LBB18_846:
	s_mov_b32 s23, -1
                                        ; implicit-def: $vgpr4
	s_branch .LBB18_851
.LBB18_847:
	s_mov_b32 s23, -1
                                        ; implicit-def: $vgpr4
.LBB18_848:
	s_andn2_b32 vcc_lo, exec_lo, s23
	s_cbranch_vccnz .LBB18_850
; %bb.849:
	global_load_ushort v2, v[0:1], off
	s_waitcnt vmcnt(0)
	v_cvt_f32_u32_e32 v4, v2
.LBB18_850:
	s_mov_b32 s23, 0
.LBB18_851:
	s_andn2_b32 vcc_lo, exec_lo, s23
	s_cbranch_vccnz .LBB18_859
; %bb.852:
	global_load_ubyte v2, v[0:1], off
	s_mov_b32 s23, 0
	s_mov_b32 s24, exec_lo
	s_waitcnt vmcnt(0)
	v_cmpx_lt_i16_e32 0x7f, v2
	s_xor_b32 s24, exec_lo, s24
	s_cbranch_execz .LBB18_873
; %bb.853:
	s_mov_b32 s23, -1
	s_mov_b32 s25, exec_lo
	v_cmpx_eq_u16_e32 0x80, v2
; %bb.854:
	s_xor_b32 s23, exec_lo, -1
; %bb.855:
	s_or_b32 exec_lo, exec_lo, s25
	s_and_b32 s23, s23, exec_lo
	s_or_saveexec_b32 s24, s24
	v_mov_b32_e32 v4, 0x7f800001
	s_xor_b32 exec_lo, exec_lo, s24
	s_cbranch_execnz .LBB18_874
.LBB18_856:
	s_or_b32 exec_lo, exec_lo, s24
	s_and_saveexec_b32 s24, s23
	s_cbranch_execz .LBB18_858
.LBB18_857:
	v_and_b32_e32 v3, 0xffff, v2
	v_lshlrev_b32_e32 v2, 24, v2
	v_and_b32_e32 v4, 7, v3
	v_bfe_u32 v8, v3, 3, 4
	v_and_b32_e32 v2, 0x80000000, v2
	v_ffbh_u32_e32 v5, v4
	v_cmp_eq_u32_e32 vcc_lo, 0, v8
	v_min_u32_e32 v5, 32, v5
	v_subrev_nc_u32_e32 v6, 28, v5
	v_sub_nc_u32_e32 v5, 29, v5
	v_lshlrev_b32_e32 v3, v6, v3
	v_cndmask_b32_e32 v5, v8, v5, vcc_lo
	v_and_b32_e32 v3, 7, v3
	v_cndmask_b32_e32 v3, v4, v3, vcc_lo
	v_lshl_add_u32 v4, v5, 23, 0x3b800000
	v_lshlrev_b32_e32 v3, 20, v3
	v_or3_b32 v4, v2, v4, v3
.LBB18_858:
	s_or_b32 exec_lo, exec_lo, s24
.LBB18_859:
	s_mov_b32 s23, -1
.LBB18_860:
	s_mov_b32 s24, 0
.LBB18_861:
	s_and_b32 vcc_lo, exec_lo, s24
	s_cbranch_vccz .LBB18_894
; %bb.862:
	s_cmp_gt_i32 s20, 22
	s_cbranch_scc0 .LBB18_872
; %bb.863:
	s_cmp_lt_i32 s20, 24
	s_cbranch_scc1 .LBB18_875
; %bb.864:
	s_cmp_gt_i32 s20, 24
	s_cbranch_scc0 .LBB18_876
; %bb.865:
	global_load_ubyte v2, v[0:1], off
	s_mov_b32 s23, exec_lo
	s_waitcnt vmcnt(0)
	v_cmpx_lt_i16_e32 0x7f, v2
	s_xor_b32 s23, exec_lo, s23
	s_cbranch_execz .LBB18_888
; %bb.866:
	s_mov_b32 s22, -1
	s_mov_b32 s24, exec_lo
	v_cmpx_eq_u16_e32 0x80, v2
; %bb.867:
	s_xor_b32 s22, exec_lo, -1
; %bb.868:
	s_or_b32 exec_lo, exec_lo, s24
	s_and_b32 s22, s22, exec_lo
	s_or_saveexec_b32 s23, s23
	v_mov_b32_e32 v4, 0x7f800001
	s_xor_b32 exec_lo, exec_lo, s23
	s_cbranch_execnz .LBB18_889
.LBB18_869:
	s_or_b32 exec_lo, exec_lo, s23
	s_and_saveexec_b32 s23, s22
	s_cbranch_execz .LBB18_871
.LBB18_870:
	v_and_b32_e32 v3, 0xffff, v2
	v_lshlrev_b32_e32 v2, 24, v2
	v_and_b32_e32 v4, 3, v3
	v_bfe_u32 v8, v3, 2, 5
	v_and_b32_e32 v2, 0x80000000, v2
	v_ffbh_u32_e32 v5, v4
	v_cmp_eq_u32_e32 vcc_lo, 0, v8
	v_min_u32_e32 v5, 32, v5
	v_subrev_nc_u32_e32 v6, 29, v5
	v_sub_nc_u32_e32 v5, 30, v5
	v_lshlrev_b32_e32 v3, v6, v3
	v_cndmask_b32_e32 v5, v8, v5, vcc_lo
	v_and_b32_e32 v3, 3, v3
	v_cndmask_b32_e32 v3, v4, v3, vcc_lo
	v_lshl_add_u32 v4, v5, 23, 0x37800000
	v_lshlrev_b32_e32 v3, 21, v3
	v_or3_b32 v4, v2, v4, v3
.LBB18_871:
	s_or_b32 exec_lo, exec_lo, s23
	s_mov_b32 s22, 0
	s_branch .LBB18_877
.LBB18_872:
	s_mov_b32 s22, -1
                                        ; implicit-def: $vgpr4
	s_branch .LBB18_883
.LBB18_873:
	s_or_saveexec_b32 s24, s24
	v_mov_b32_e32 v4, 0x7f800001
	s_xor_b32 exec_lo, exec_lo, s24
	s_cbranch_execz .LBB18_856
.LBB18_874:
	v_cmp_ne_u16_e32 vcc_lo, 0, v2
	v_mov_b32_e32 v4, 0
	s_andn2_b32 s23, s23, exec_lo
	s_and_b32 s25, vcc_lo, exec_lo
	s_or_b32 s23, s23, s25
	s_or_b32 exec_lo, exec_lo, s24
	s_and_saveexec_b32 s24, s23
	s_cbranch_execnz .LBB18_857
	s_branch .LBB18_858
.LBB18_875:
	s_mov_b32 s22, -1
                                        ; implicit-def: $vgpr4
	s_branch .LBB18_880
.LBB18_876:
	s_mov_b32 s22, -1
                                        ; implicit-def: $vgpr4
.LBB18_877:
	s_and_b32 vcc_lo, exec_lo, s22
	s_cbranch_vccz .LBB18_879
; %bb.878:
	global_load_ubyte v2, v[0:1], off
	s_waitcnt vmcnt(0)
	v_lshlrev_b32_e32 v2, 24, v2
	v_and_b32_e32 v3, 0x7f000000, v2
	v_ffbh_u32_e32 v4, v3
	v_add_nc_u32_e32 v6, 0x1000000, v3
	v_cmp_ne_u32_e32 vcc_lo, 0, v3
	v_min_u32_e32 v4, 32, v4
	v_sub_nc_u32_e64 v4, v4, 4 clamp
	v_lshlrev_b32_e32 v5, v4, v3
	v_lshlrev_b32_e32 v4, 23, v4
	v_lshrrev_b32_e32 v5, 4, v5
	v_sub_nc_u32_e32 v4, v5, v4
	v_ashrrev_i32_e32 v5, 8, v6
	v_add_nc_u32_e32 v4, 0x3c000000, v4
	v_and_or_b32 v4, 0x7f800000, v5, v4
	v_cndmask_b32_e32 v3, 0, v4, vcc_lo
	v_and_or_b32 v4, 0x80000000, v2, v3
.LBB18_879:
	s_mov_b32 s22, 0
.LBB18_880:
	s_andn2_b32 vcc_lo, exec_lo, s22
	s_cbranch_vccnz .LBB18_882
; %bb.881:
	global_load_ubyte v2, v[0:1], off
	s_waitcnt vmcnt(0)
	v_lshlrev_b32_e32 v3, 25, v2
	v_lshlrev_b16 v2, 8, v2
	v_lshrrev_b32_e32 v4, 4, v3
	v_and_or_b32 v5, 0x7f00, v2, 0.5
	v_cmp_gt_u32_e32 vcc_lo, 0x8000000, v3
	v_bfe_i32 v2, v2, 0, 16
	v_or_b32_e32 v4, 0x70000000, v4
	v_add_f32_e32 v5, -0.5, v5
	v_mul_f32_e32 v4, 0x7800000, v4
	v_cndmask_b32_e32 v3, v4, v5, vcc_lo
	v_and_or_b32 v4, 0x80000000, v2, v3
.LBB18_882:
	s_mov_b32 s22, 0
	s_mov_b32 s23, -1
.LBB18_883:
	s_andn2_b32 vcc_lo, exec_lo, s22
	s_mov_b32 s22, 0
	s_cbranch_vccnz .LBB18_894
; %bb.884:
	s_cmp_gt_i32 s20, 14
	s_cbranch_scc0 .LBB18_887
; %bb.885:
	s_cmp_eq_u32 s20, 15
	s_cbranch_scc0 .LBB18_890
; %bb.886:
	global_load_ushort v2, v[0:1], off
	s_mov_b32 s21, 0
	s_mov_b32 s23, -1
	s_waitcnt vmcnt(0)
	v_lshlrev_b32_e32 v4, 16, v2
	s_branch .LBB18_892
.LBB18_887:
	s_mov_b32 s22, -1
	s_branch .LBB18_891
.LBB18_888:
	s_or_saveexec_b32 s23, s23
	v_mov_b32_e32 v4, 0x7f800001
	s_xor_b32 exec_lo, exec_lo, s23
	s_cbranch_execz .LBB18_869
.LBB18_889:
	v_cmp_ne_u16_e32 vcc_lo, 0, v2
	v_mov_b32_e32 v4, 0
	s_andn2_b32 s22, s22, exec_lo
	s_and_b32 s24, vcc_lo, exec_lo
	s_or_b32 s22, s22, s24
	s_or_b32 exec_lo, exec_lo, s23
	s_and_saveexec_b32 s23, s22
	s_cbranch_execnz .LBB18_870
	s_branch .LBB18_871
.LBB18_890:
	s_mov_b32 s21, -1
.LBB18_891:
                                        ; implicit-def: $vgpr4
.LBB18_892:
	s_and_b32 vcc_lo, exec_lo, s22
	s_mov_b32 s22, 0
	s_cbranch_vccz .LBB18_894
; %bb.893:
	s_cmp_lg_u32 s20, 11
	s_mov_b32 s22, -1
	s_cselect_b32 s20, -1, 0
	s_andn2_b32 s21, s21, exec_lo
	s_and_b32 s20, s20, exec_lo
	s_or_b32 s21, s21, s20
.LBB18_894:
	s_mov_b32 s20, 0
.LBB18_895:
	s_andn2_b32 s25, s0, exec_lo
	s_and_b32 s21, s21, exec_lo
	s_and_b32 s23, s23, exec_lo
	;; [unrolled: 1-line block ×4, first 2 shown]
	s_or_b32 s21, s25, s21
.LBB18_896:
	s_or_b32 exec_lo, exec_lo, s12
	s_andn2_b32 s0, s0, exec_lo
	s_and_b32 s12, s21, exec_lo
	s_and_b32 s23, s23, exec_lo
	;; [unrolled: 1-line block ×4, first 2 shown]
	s_or_b32 s0, s0, s12
.LBB18_897:
	s_or_b32 exec_lo, exec_lo, s18
	s_andn2_b32 s12, s16, exec_lo
	s_and_b32 s16, s19, exec_lo
	s_and_b32 s0, s0, exec_lo
	s_or_b32 s16, s12, s16
	s_andn2_b32 s12, s15, exec_lo
	s_and_b32 s20, s23, exec_lo
	s_and_b32 s19, s22, exec_lo
	;; [unrolled: 1-line block ×3, first 2 shown]
	s_or_b32 s15, s12, s0
.LBB18_898:
	s_or_b32 exec_lo, exec_lo, s17
	s_andn2_b32 s0, s7, exec_lo
	s_and_b32 s7, s16, exec_lo
	s_andn2_b32 s12, s13, exec_lo
	s_and_b32 s13, s15, exec_lo
	s_or_b32 s7, s0, s7
	s_and_b32 s0, s20, exec_lo
	s_and_b32 s16, s19, exec_lo
	s_and_b32 s15, s18, exec_lo
	s_or_b32 s13, s12, s13
	s_or_b32 exec_lo, exec_lo, s14
	s_mov_b32 s12, 0
	s_and_saveexec_b32 s14, s13
	s_cbranch_execz .LBB18_274
.LBB18_899:
	s_mov_b32 s12, exec_lo
	s_andn2_b32 s15, s15, exec_lo
	s_trap 2
	s_or_b32 exec_lo, exec_lo, s14
	s_and_saveexec_b32 s13, s15
	s_xor_b32 s13, exec_lo, s13
	s_cbranch_execnz .LBB18_275
.LBB18_900:
	s_or_b32 exec_lo, exec_lo, s13
	s_and_saveexec_b32 s13, s16
	s_cbranch_execz .LBB18_946
.LBB18_901:
	s_sext_i32_i16 s14, s5
	s_cmp_lt_i32 s14, 5
	s_cbranch_scc1 .LBB18_906
; %bb.902:
	s_cmp_lt_i32 s14, 8
	s_cbranch_scc1 .LBB18_907
; %bb.903:
	;; [unrolled: 3-line block ×3, first 2 shown]
	s_cmp_gt_i32 s14, 9
	s_cbranch_scc0 .LBB18_909
; %bb.905:
	global_load_dwordx2 v[2:3], v[0:1], off
	s_mov_b32 s14, 0
	s_waitcnt vmcnt(0)
	v_cvt_f32_f64_e32 v4, v[2:3]
	s_branch .LBB18_910
.LBB18_906:
                                        ; implicit-def: $vgpr4
	s_branch .LBB18_927
.LBB18_907:
                                        ; implicit-def: $vgpr4
	s_branch .LBB18_916
.LBB18_908:
	s_mov_b32 s14, -1
                                        ; implicit-def: $vgpr4
	s_branch .LBB18_913
.LBB18_909:
	s_mov_b32 s14, -1
                                        ; implicit-def: $vgpr4
.LBB18_910:
	s_andn2_b32 vcc_lo, exec_lo, s14
	s_cbranch_vccnz .LBB18_912
; %bb.911:
	global_load_dword v4, v[0:1], off
.LBB18_912:
	s_mov_b32 s14, 0
.LBB18_913:
	s_andn2_b32 vcc_lo, exec_lo, s14
	s_cbranch_vccnz .LBB18_915
; %bb.914:
	global_load_dword v2, v[0:1], off
	s_waitcnt vmcnt(0)
	v_cvt_f32_f16_e32 v4, v2
.LBB18_915:
	s_cbranch_execnz .LBB18_926
.LBB18_916:
	s_sext_i32_i16 s14, s5
	s_cmp_lt_i32 s14, 6
	s_cbranch_scc1 .LBB18_919
; %bb.917:
	s_cmp_gt_i32 s14, 6
	s_cbranch_scc0 .LBB18_920
; %bb.918:
	global_load_dwordx2 v[2:3], v[0:1], off
	s_mov_b32 s14, 0
	s_waitcnt vmcnt(0)
	v_cvt_f32_f64_e32 v4, v[2:3]
	s_branch .LBB18_921
.LBB18_919:
	s_mov_b32 s14, -1
                                        ; implicit-def: $vgpr4
	s_branch .LBB18_924
.LBB18_920:
	s_mov_b32 s14, -1
                                        ; implicit-def: $vgpr4
.LBB18_921:
	s_andn2_b32 vcc_lo, exec_lo, s14
	s_cbranch_vccnz .LBB18_923
; %bb.922:
	global_load_dword v4, v[0:1], off
.LBB18_923:
	s_mov_b32 s14, 0
.LBB18_924:
	s_andn2_b32 vcc_lo, exec_lo, s14
	s_cbranch_vccnz .LBB18_926
; %bb.925:
	global_load_ushort v2, v[0:1], off
	s_waitcnt vmcnt(0)
	v_cvt_f32_f16_e32 v4, v2
.LBB18_926:
	s_cbranch_execnz .LBB18_945
.LBB18_927:
	s_sext_i32_i16 s14, s5
	s_cmp_lt_i32 s14, 2
	s_cbranch_scc1 .LBB18_931
; %bb.928:
	s_cmp_lt_i32 s14, 3
	s_cbranch_scc1 .LBB18_932
; %bb.929:
	s_cmp_gt_i32 s14, 3
	s_cbranch_scc0 .LBB18_933
; %bb.930:
	global_load_dwordx2 v[2:3], v[0:1], off
	s_mov_b32 s14, 0
	s_waitcnt vmcnt(0)
	v_xor_b32_e32 v4, v2, v3
	v_ffbh_i32_e32 v5, v3
	v_ashrrev_i32_e32 v4, 31, v4
	v_add_nc_u32_e32 v5, -1, v5
	v_add_nc_u32_e32 v4, 32, v4
	v_min_u32_e32 v4, v5, v4
	v_lshlrev_b64 v[2:3], v4, v[2:3]
	v_min_u32_e32 v2, 1, v2
	v_or_b32_e32 v2, v3, v2
	v_sub_nc_u32_e32 v3, 32, v4
	v_cvt_f32_i32_e32 v2, v2
	v_ldexp_f32 v4, v2, v3
	s_branch .LBB18_934
.LBB18_931:
                                        ; implicit-def: $vgpr4
	s_branch .LBB18_940
.LBB18_932:
	s_mov_b32 s14, -1
                                        ; implicit-def: $vgpr4
	s_branch .LBB18_937
.LBB18_933:
	s_mov_b32 s14, -1
                                        ; implicit-def: $vgpr4
.LBB18_934:
	s_andn2_b32 vcc_lo, exec_lo, s14
	s_cbranch_vccnz .LBB18_936
; %bb.935:
	global_load_dword v2, v[0:1], off
	s_waitcnt vmcnt(0)
	v_cvt_f32_i32_e32 v4, v2
.LBB18_936:
	s_mov_b32 s14, 0
.LBB18_937:
	s_andn2_b32 vcc_lo, exec_lo, s14
	s_cbranch_vccnz .LBB18_939
; %bb.938:
	global_load_sshort v2, v[0:1], off
	s_waitcnt vmcnt(0)
	v_cvt_f32_i32_e32 v4, v2
.LBB18_939:
	s_cbranch_execnz .LBB18_945
.LBB18_940:
	s_sext_i32_i16 s14, s5
	s_cmp_gt_i32 s14, 0
	s_mov_b32 s14, 0
	s_cbranch_scc0 .LBB18_942
; %bb.941:
	global_load_sbyte v2, v[0:1], off
	s_waitcnt vmcnt(0)
	v_cvt_f32_i32_e32 v4, v2
	s_branch .LBB18_943
.LBB18_942:
	s_mov_b32 s14, -1
                                        ; implicit-def: $vgpr4
.LBB18_943:
	s_andn2_b32 vcc_lo, exec_lo, s14
	s_cbranch_vccnz .LBB18_945
; %bb.944:
	global_load_ubyte v0, v[0:1], off
	s_waitcnt vmcnt(0)
	v_cvt_f32_ubyte0_e32 v4, v0
.LBB18_945:
	s_or_b32 s0, s0, exec_lo
.LBB18_946:
	s_or_b32 exec_lo, exec_lo, s13
	s_mov_b32 s16, 0
	s_mov_b32 s15, 0
                                        ; implicit-def: $sgpr14
                                        ; implicit-def: $vgpr2_vgpr3
                                        ; implicit-def: $vgpr0
	s_and_saveexec_b32 s13, s0
	s_cbranch_execz .LBB18_966
; %bb.947:
	s_waitcnt vmcnt(0)
	v_mul_f32_e64 v1, 0x3fb8aa3b, |v4|
	s_mov_b32 s14, exec_lo
                                        ; implicit-def: $vgpr0
	v_cmpx_ge_f32_e64 0x41000000, |v4|
	s_xor_b32 s14, exec_lo, s14
	s_cbranch_execz .LBB18_953
; %bb.948:
	v_fma_f32 v0, |v4|, 0.5, -2.0
	s_mov_b32 s0, 0x224cf950
	v_rndne_f32_e32 v5, v1
	v_fma_f32 v6, 0x3fb8aa3b, |v4|, -v1
	v_cmp_ngt_f32_e64 vcc_lo, 0xc2ce8ed0, |v4|
	v_fmaak_f32 v2, s0, v0, 0xa3c2be86
	v_cmp_nlt_f32_e64 s0, 0x42b17218, |v4|
	v_sub_f32_e32 v1, v1, v5
	v_fma_f32 v6, 0x32a5705f, |v4|, v6
	v_fmaak_f32 v3, v0, v2, 0xa24cf950
	v_add_f32_e32 v1, v1, v6
	v_add_f32_e32 v3, 0x25331f1f, v3
	v_exp_f32_e32 v1, v1
	v_fma_f32 v2, v0, v3, -v2
	v_add_f32_e32 v2, 0xa69f5554, v2
	v_fma_f32 v3, v0, v2, -v3
	v_add_f32_e32 v3, 0x2808ebf8, v3
	;; [unrolled: 2-line block ×25, first 2 shown]
	v_fma_f32 v0, v0, v2, -v3
	v_cvt_i32_f32_e32 v2, v5
	v_add_f32_e32 v0, 0x3e81531c, v0
	v_ldexp_f32 v1, v1, v2
	v_sub_f32_e32 v0, v0, v3
	v_cndmask_b32_e32 v2, 0, v1, vcc_lo
	v_mul_f32_e32 v0, 0.5, v0
	v_cndmask_b32_e64 v2, 0x7f800000, v2, s0
	s_mov_b32 s0, exec_lo
	v_mul_f32_e64 v1, |v4|, v0
                                        ; implicit-def: $vgpr0
	v_cmpx_ngt_f32_e32 0, v4
	s_xor_b32 s0, exec_lo, s0
; %bb.949:
	v_mul_f32_e32 v0, v2, v1
                                        ; implicit-def: $vgpr2
                                        ; implicit-def: $vgpr1
; %bb.950:
	s_andn2_saveexec_b32 s0, s0
; %bb.951:
	v_mul_f32_e64 v0, v1, -v2
; %bb.952:
	s_or_b32 exec_lo, exec_lo, s0
                                        ; implicit-def: $vgpr4
                                        ; implicit-def: $vgpr1
.LBB18_953:
	s_andn2_saveexec_b32 s14, s14
	s_cbranch_execz .LBB18_959
; %bb.954:
	v_and_b32_e32 v0, 0x7fffffff, v4
	s_mov_b32 s0, 0x230aab6e
	v_div_scale_f32 v2, null, v0, v0, 0x42000000
	v_div_scale_f32 v0, vcc_lo, 0x42000000, v0, 0x42000000
	v_rcp_f32_e32 v3, v2
	v_fma_f32 v5, -v2, v3, 1.0
	v_fmac_f32_e32 v3, v5, v3
	v_mul_f32_e32 v5, v0, v3
	v_fma_f32 v6, -v2, v5, v0
	v_fmac_f32_e32 v5, v6, v3
	v_fma_f32 v6, 0x3fb8aa3b, |v4|, -v1
	v_fma_f32 v0, -v2, v5, v0
	v_fma_f32 v6, 0x32a5705f, |v4|, v6
	v_div_fmas_f32 v0, v0, v3, v5
	v_rndne_f32_e32 v5, v1
	v_cmp_ngt_f32_e64 vcc_lo, 0xc2ce8ed0, |v4|
	v_div_fixup_f32 v0, v0, |v4|, 0x42000000
	v_sub_f32_e32 v1, v1, v5
	v_cvt_i32_f32_e32 v5, v5
	v_add_f32_e32 v0, -2.0, v0
	v_add_f32_e32 v1, v1, v6
	v_fmaak_f32 v2, s0, v0, 0x22a2dc57
	v_exp_f32_e32 v1, v1
	v_cmp_nlt_f32_e64 s0, 0x42b17218, |v4|
	v_fmaak_f32 v3, v0, v2, 0xa30aab6e
	v_add_f32_e32 v3, 0xa456751e, v3
	v_ldexp_f32 v1, v1, v5
	v_fma_f32 v2, v0, v3, -v2
	v_cndmask_b32_e32 v1, 0, v1, vcc_lo
	v_add_f32_e32 v2, 0xa4140365, v2
	v_cndmask_b32_e64 v1, 0x7f800000, v1, s0
	s_mov_b32 s0, exec_lo
	v_fma_f32 v3, v0, v2, -v3
	v_add_f32_e32 v3, 0x25aac8b0, v3
	v_fma_f32 v2, v0, v3, -v2
	v_add_f32_e32 v2, 0x25beb473, v2
	;; [unrolled: 2-line block ×21, first 2 shown]
	v_sub_f32_e32 v2, v0, v3
	v_mul_f32_e64 v3, 0x4f800000, |v4|
                                        ; implicit-def: $vgpr0
	v_cmpx_ngt_f32_e32 0, v4
	s_xor_b32 s15, exec_lo, s0
	s_cbranch_execz .LBB18_956
; %bb.955:
	v_cmp_gt_f32_e64 vcc_lo, 0xf800000, |v4|
	v_mul_f32_e32 v2, 0.5, v2
	v_cndmask_b32_e64 v0, |v4|, v3, vcc_lo
	v_mul_f32_e32 v1, v1, v2
	v_sqrt_f32_e32 v3, v0
	v_add_nc_u32_e32 v4, -1, v3
	v_add_nc_u32_e32 v5, 1, v3
	v_fma_f32 v6, -v4, v3, v0
	v_fma_f32 v8, -v5, v3, v0
	v_cmp_ge_f32_e64 s0, 0, v6
	v_cndmask_b32_e64 v3, v3, v4, s0
	v_cmp_lt_f32_e64 s0, 0, v8
	v_cndmask_b32_e64 v3, v3, v5, s0
	v_mul_f32_e32 v4, 0x37800000, v3
	v_cndmask_b32_e32 v3, v3, v4, vcc_lo
	v_cmp_class_f32_e64 vcc_lo, v0, 0x260
	v_cndmask_b32_e32 v0, v3, v0, vcc_lo
	v_div_scale_f32 v2, null, v0, v0, v1
	v_rcp_f32_e32 v3, v2
	v_fma_f32 v4, -v2, v3, 1.0
	v_fmac_f32_e32 v3, v4, v3
	v_div_scale_f32 v4, vcc_lo, v1, v0, v1
	v_mul_f32_e32 v5, v4, v3
	v_fma_f32 v6, -v2, v5, v4
	v_fmac_f32_e32 v5, v6, v3
	v_fma_f32 v2, -v2, v5, v4
                                        ; implicit-def: $vgpr4
	v_div_fmas_f32 v2, v2, v3, v5
                                        ; implicit-def: $vgpr3
	v_div_fixup_f32 v0, v2, v0, v1
                                        ; implicit-def: $vgpr2
                                        ; implicit-def: $vgpr1
.LBB18_956:
	s_andn2_saveexec_b32 s15, s15
	s_cbranch_execz .LBB18_958
; %bb.957:
	v_cmp_gt_f32_e64 vcc_lo, 0xf800000, |v4|
	v_mul_f32_e32 v2, -0.5, v2
	v_cndmask_b32_e64 v0, |v4|, v3, vcc_lo
	v_mul_f32_e32 v1, v1, v2
	v_sqrt_f32_e32 v3, v0
	v_add_nc_u32_e32 v4, -1, v3
	v_add_nc_u32_e32 v5, 1, v3
	v_fma_f32 v6, -v4, v3, v0
	v_fma_f32 v8, -v5, v3, v0
	v_cmp_ge_f32_e64 s0, 0, v6
	v_cndmask_b32_e64 v3, v3, v4, s0
	v_cmp_lt_f32_e64 s0, 0, v8
	v_cndmask_b32_e64 v3, v3, v5, s0
	v_mul_f32_e32 v4, 0x37800000, v3
	v_cndmask_b32_e32 v3, v3, v4, vcc_lo
	v_cmp_class_f32_e64 vcc_lo, v0, 0x260
	v_cndmask_b32_e32 v0, v3, v0, vcc_lo
	v_div_scale_f32 v2, null, v0, v0, v1
	v_rcp_f32_e32 v3, v2
	v_fma_f32 v4, -v2, v3, 1.0
	v_fmac_f32_e32 v3, v4, v3
	v_div_scale_f32 v4, vcc_lo, v1, v0, v1
	v_mul_f32_e32 v5, v4, v3
	v_fma_f32 v6, -v2, v5, v4
	v_fmac_f32_e32 v5, v6, v3
	v_fma_f32 v2, -v2, v5, v4
	v_div_fmas_f32 v2, v2, v3, v5
	v_div_fixup_f32 v0, v2, v0, v1
.LBB18_958:
	s_or_b32 exec_lo, exec_lo, s15
.LBB18_959:
	s_or_b32 exec_lo, exec_lo, s14
	v_mul_lo_u32 v1, v7, s2
	s_and_b32 s14, s1, 0xff
	s_cmp_lt_i32 s14, 11
	v_ashrrev_i32_e32 v3, 31, v1
	v_add_co_u32 v2, vcc_lo, s8, v1
	v_add_co_ci_u32_e64 v3, null, s9, v3, vcc_lo
	s_cbranch_scc1 .LBB18_969
; %bb.960:
	s_and_b32 s15, 0xffff, s14
	s_mov_b32 s16, -1
	s_cmp_gt_i32 s15, 25
	s_mov_b32 s0, s7
	s_cbranch_scc0 .LBB18_997
; %bb.961:
	s_cmp_gt_i32 s15, 28
	s_mov_b32 s0, s7
	s_cbranch_scc0 .LBB18_981
; %bb.962:
	;; [unrolled: 4-line block ×4, first 2 shown]
	s_cmp_eq_u32 s15, 46
	s_mov_b32 s0, -1
	s_cbranch_scc0 .LBB18_970
; %bb.965:
	v_bfe_u32 v1, v0, 16, 1
	v_cmp_o_f32_e32 vcc_lo, v0, v0
	v_mov_b32_e32 v4, 0x7fc0
	s_mov_b32 s0, 0
	s_mov_b32 s16, 0
	v_add3_u32 v1, v0, v1, 0x7fff
	v_cndmask_b32_sdwa v1, v4, v1, vcc_lo dst_sel:DWORD dst_unused:UNUSED_PAD src0_sel:DWORD src1_sel:WORD_1
	global_store_dword v[2:3], v1, off
	s_branch .LBB18_971
.LBB18_966:
	s_or_b32 exec_lo, exec_lo, s13
	s_and_saveexec_b32 s0, s7
	s_cbranch_execnz .LBB18_1039
.LBB18_967:
	s_or_b32 exec_lo, exec_lo, s0
	s_and_saveexec_b32 s0, s16
	s_xor_b32 s0, exec_lo, s0
	s_cbranch_execz .LBB18_1040
.LBB18_968:
	v_cmp_neq_f32_e32 vcc_lo, 0, v0
	v_cndmask_b32_e64 v1, 0, 1, vcc_lo
	s_waitcnt vmcnt(0)
	global_store_byte v[2:3], v1, off
	s_or_b32 exec_lo, exec_lo, s0
	s_and_saveexec_b32 s0, s15
	s_xor_b32 s0, exec_lo, s0
	s_cbranch_execz .LBB18_1078
	s_branch .LBB18_1041
.LBB18_969:
	s_mov_b32 s17, 0
	s_mov_b32 s16, -1
	s_mov_b32 s0, s7
	s_branch .LBB18_1038
.LBB18_970:
	s_mov_b32 s16, 0
.LBB18_971:
	s_and_b32 vcc_lo, exec_lo, s16
	s_cbranch_vccz .LBB18_976
; %bb.972:
	s_cmp_eq_u32 s15, 44
	s_mov_b32 s0, -1
	s_cbranch_scc0 .LBB18_976
; %bb.973:
	v_bfe_u32 v4, v0, 23, 8
	v_mov_b32_e32 v1, 0xff
	s_mov_b32 s16, exec_lo
	v_cmpx_ne_u32_e32 0xff, v4
	s_cbranch_execz .LBB18_975
; %bb.974:
	v_and_b32_e32 v1, 0x400000, v0
	v_and_or_b32 v4, 0x3fffff, v0, v4
	v_cmp_ne_u32_e32 vcc_lo, 0, v1
	v_cmp_ne_u32_e64 s0, 0, v4
	v_lshrrev_b32_e32 v1, 23, v0
	s_and_b32 s0, vcc_lo, s0
	v_cndmask_b32_e64 v4, 0, 1, s0
	v_add_nc_u32_e32 v1, v1, v4
.LBB18_975:
	s_or_b32 exec_lo, exec_lo, s16
	s_mov_b32 s0, 0
	global_store_byte v[2:3], v1, off
.LBB18_976:
	s_mov_b32 s16, 0
.LBB18_977:
	s_and_b32 vcc_lo, exec_lo, s16
	s_cbranch_vccz .LBB18_980
; %bb.978:
	s_cmp_eq_u32 s15, 29
	s_mov_b32 s0, -1
	s_cbranch_scc0 .LBB18_980
; %bb.979:
	v_trunc_f32_e32 v1, v0
	s_mov_b32 s0, 0
	s_mov_b32 s16, 0
	v_mul_f32_e32 v4, 0x2f800000, v1
	v_floor_f32_e32 v4, v4
	v_fmamk_f32 v1, v4, 0xcf800000, v1
	v_cvt_u32_f32_e32 v5, v4
	v_cvt_u32_f32_e32 v4, v1
	global_store_dwordx2 v[2:3], v[4:5], off
	s_branch .LBB18_981
.LBB18_980:
	s_mov_b32 s16, 0
.LBB18_981:
	s_and_b32 vcc_lo, exec_lo, s16
	s_cbranch_vccz .LBB18_996
; %bb.982:
	s_cmp_lt_i32 s15, 27
	s_mov_b32 s16, -1
	s_cbranch_scc1 .LBB18_988
; %bb.983:
	v_cvt_u32_f32_e32 v1, v0
	s_cmp_gt_i32 s15, 27
	s_cbranch_scc0 .LBB18_985
; %bb.984:
	s_mov_b32 s16, 0
	global_store_dword v[2:3], v1, off
.LBB18_985:
	s_andn2_b32 vcc_lo, exec_lo, s16
	s_cbranch_vccnz .LBB18_987
; %bb.986:
	global_store_short v[2:3], v1, off
.LBB18_987:
	s_mov_b32 s16, 0
.LBB18_988:
	s_andn2_b32 vcc_lo, exec_lo, s16
	s_cbranch_vccnz .LBB18_996
; %bb.989:
	v_and_b32_e32 v1, 0x7fffffff, v0
	v_mov_b32_e32 v4, 0x80
	s_mov_b32 s16, exec_lo
	v_cmpx_gt_u32_e32 0x43800000, v1
	s_cbranch_execz .LBB18_995
; %bb.990:
	v_cmp_lt_u32_e32 vcc_lo, 0x3bffffff, v1
	s_mov_b32 s17, 0
                                        ; implicit-def: $vgpr1
	s_and_saveexec_b32 s18, vcc_lo
	s_xor_b32 s18, exec_lo, s18
	s_cbranch_execz .LBB18_1093
; %bb.991:
	v_bfe_u32 v1, v0, 20, 1
	s_mov_b32 s17, exec_lo
	v_add3_u32 v1, v0, v1, 0x487ffff
	v_lshrrev_b32_e32 v1, 20, v1
	s_andn2_saveexec_b32 s18, s18
	s_cbranch_execnz .LBB18_1094
.LBB18_992:
	s_or_b32 exec_lo, exec_lo, s18
	v_mov_b32_e32 v4, 0
	s_and_saveexec_b32 s18, s17
.LBB18_993:
	v_lshrrev_b32_e32 v4, 24, v0
	v_and_or_b32 v4, 0x80, v4, v1
.LBB18_994:
	s_or_b32 exec_lo, exec_lo, s18
.LBB18_995:
	s_or_b32 exec_lo, exec_lo, s16
	global_store_byte v[2:3], v4, off
.LBB18_996:
	s_mov_b32 s16, 0
.LBB18_997:
	s_and_b32 vcc_lo, exec_lo, s16
	s_mov_b32 s16, 0
	s_cbranch_vccz .LBB18_1037
; %bb.998:
	s_cmp_gt_i32 s15, 22
	s_mov_b32 s17, -1
	s_cbranch_scc0 .LBB18_1030
; %bb.999:
	s_cmp_lt_i32 s15, 24
	s_cbranch_scc1 .LBB18_1019
; %bb.1000:
	s_cmp_gt_i32 s15, 24
	s_cbranch_scc0 .LBB18_1008
; %bb.1001:
	v_and_b32_e32 v1, 0x7fffffff, v0
	v_mov_b32_e32 v4, 0x80
	s_mov_b32 s17, exec_lo
	v_cmpx_gt_u32_e32 0x47800000, v1
	s_cbranch_execz .LBB18_1007
; %bb.1002:
	v_cmp_lt_u32_e32 vcc_lo, 0x37ffffff, v1
	s_mov_b32 s18, 0
                                        ; implicit-def: $vgpr1
	s_and_saveexec_b32 s19, vcc_lo
	s_xor_b32 s19, exec_lo, s19
	s_cbranch_execz .LBB18_1231
; %bb.1003:
	v_bfe_u32 v1, v0, 21, 1
	s_mov_b32 s18, exec_lo
	v_add3_u32 v1, v0, v1, 0x88fffff
	v_lshrrev_b32_e32 v1, 21, v1
	s_andn2_saveexec_b32 s19, s19
	s_cbranch_execnz .LBB18_1232
.LBB18_1004:
	s_or_b32 exec_lo, exec_lo, s19
	v_mov_b32_e32 v4, 0
	s_and_saveexec_b32 s19, s18
.LBB18_1005:
	v_lshrrev_b32_e32 v4, 24, v0
	v_and_or_b32 v4, 0x80, v4, v1
.LBB18_1006:
	s_or_b32 exec_lo, exec_lo, s19
.LBB18_1007:
	s_or_b32 exec_lo, exec_lo, s17
	s_mov_b32 s17, 0
	global_store_byte v[2:3], v4, off
.LBB18_1008:
	s_and_b32 vcc_lo, exec_lo, s17
	s_cbranch_vccz .LBB18_1018
; %bb.1009:
	v_and_b32_e32 v4, 0x7fffffff, v0
	s_mov_b32 s17, exec_lo
                                        ; implicit-def: $vgpr1
	v_cmpx_gt_u32_e32 0x43f00000, v4
	s_xor_b32 s17, exec_lo, s17
	s_cbranch_execz .LBB18_1015
; %bb.1010:
	s_mov_b32 s18, exec_lo
                                        ; implicit-def: $vgpr1
	v_cmpx_lt_u32_e32 0x3c7fffff, v4
	s_xor_b32 s18, exec_lo, s18
; %bb.1011:
	v_bfe_u32 v1, v0, 20, 1
	v_add3_u32 v1, v0, v1, 0x407ffff
	v_and_b32_e32 v4, 0xff00000, v1
	v_lshrrev_b32_e32 v1, 20, v1
	v_cmp_ne_u32_e32 vcc_lo, 0x7f00000, v4
	v_cndmask_b32_e32 v1, 0x7e, v1, vcc_lo
; %bb.1012:
	s_andn2_saveexec_b32 s18, s18
; %bb.1013:
	v_add_f32_e64 v1, 0x46800000, |v0|
; %bb.1014:
	s_or_b32 exec_lo, exec_lo, s18
                                        ; implicit-def: $vgpr4
.LBB18_1015:
	s_andn2_saveexec_b32 s17, s17
; %bb.1016:
	v_mov_b32_e32 v1, 0x7f
	v_cmp_lt_u32_e32 vcc_lo, 0x7f800000, v4
	v_cndmask_b32_e32 v1, 0x7e, v1, vcc_lo
; %bb.1017:
	s_or_b32 exec_lo, exec_lo, s17
	v_lshrrev_b32_e32 v4, 24, v0
	v_and_or_b32 v1, 0x80, v4, v1
	global_store_byte v[2:3], v1, off
.LBB18_1018:
	s_mov_b32 s17, 0
.LBB18_1019:
	s_andn2_b32 vcc_lo, exec_lo, s17
	s_cbranch_vccnz .LBB18_1029
; %bb.1020:
	v_and_b32_e32 v4, 0x7fffffff, v0
	s_mov_b32 s17, exec_lo
                                        ; implicit-def: $vgpr1
	v_cmpx_gt_u32_e32 0x47800000, v4
	s_xor_b32 s17, exec_lo, s17
	s_cbranch_execz .LBB18_1026
; %bb.1021:
	s_mov_b32 s18, exec_lo
                                        ; implicit-def: $vgpr1
	v_cmpx_lt_u32_e32 0x387fffff, v4
	s_xor_b32 s18, exec_lo, s18
; %bb.1022:
	v_bfe_u32 v1, v0, 21, 1
	v_add3_u32 v1, v0, v1, 0x80fffff
	v_lshrrev_b32_e32 v1, 21, v1
; %bb.1023:
	s_andn2_saveexec_b32 s18, s18
; %bb.1024:
	v_add_f32_e64 v1, 0x43000000, |v0|
; %bb.1025:
	s_or_b32 exec_lo, exec_lo, s18
                                        ; implicit-def: $vgpr4
.LBB18_1026:
	s_andn2_saveexec_b32 s17, s17
; %bb.1027:
	v_mov_b32_e32 v1, 0x7f
	v_cmp_lt_u32_e32 vcc_lo, 0x7f800000, v4
	v_cndmask_b32_e32 v1, 0x7c, v1, vcc_lo
; %bb.1028:
	s_or_b32 exec_lo, exec_lo, s17
	v_lshrrev_b32_e32 v4, 24, v0
	v_and_or_b32 v1, 0x80, v4, v1
	global_store_byte v[2:3], v1, off
.LBB18_1029:
	s_mov_b32 s17, 0
.LBB18_1030:
	s_andn2_b32 vcc_lo, exec_lo, s17
	s_mov_b32 s17, 0
	s_cbranch_vccnz .LBB18_1038
; %bb.1031:
	s_cmp_gt_i32 s15, 14
	s_mov_b32 s17, -1
	s_cbranch_scc0 .LBB18_1035
; %bb.1032:
	s_cmp_eq_u32 s15, 15
	s_mov_b32 s0, -1
	s_cbranch_scc0 .LBB18_1034
; %bb.1033:
	v_bfe_u32 v1, v0, 16, 1
	v_cmp_o_f32_e32 vcc_lo, v0, v0
	v_mov_b32_e32 v4, 0x7fc0
	s_mov_b32 s0, 0
	v_add3_u32 v1, v0, v1, 0x7fff
	v_cndmask_b32_sdwa v1, v4, v1, vcc_lo dst_sel:DWORD dst_unused:UNUSED_PAD src0_sel:DWORD src1_sel:WORD_1
	global_store_short v[2:3], v1, off
.LBB18_1034:
	s_mov_b32 s17, 0
.LBB18_1035:
	s_and_b32 vcc_lo, exec_lo, s17
	s_mov_b32 s17, 0
	s_cbranch_vccz .LBB18_1038
; %bb.1036:
	s_cmp_lg_u32 s15, 11
	s_mov_b32 s17, -1
	s_cselect_b32 s15, -1, 0
	s_andn2_b32 s0, s0, exec_lo
	s_and_b32 s15, s15, exec_lo
	s_or_b32 s0, s0, s15
	s_branch .LBB18_1038
.LBB18_1037:
	s_mov_b32 s17, 0
.LBB18_1038:
	s_andn2_b32 s7, s7, exec_lo
	s_and_b32 s0, s0, exec_lo
	s_and_b32 s15, s16, exec_lo
	;; [unrolled: 1-line block ×3, first 2 shown]
	s_or_b32 s7, s7, s0
	s_or_b32 exec_lo, exec_lo, s13
	s_and_saveexec_b32 s0, s7
	s_cbranch_execz .LBB18_967
.LBB18_1039:
	s_or_b32 s12, s12, exec_lo
	s_andn2_b32 s16, s16, exec_lo
	s_trap 2
	s_or_b32 exec_lo, exec_lo, s0
	s_and_saveexec_b32 s0, s16
	s_xor_b32 s0, exec_lo, s0
	s_cbranch_execnz .LBB18_968
.LBB18_1040:
	s_or_b32 exec_lo, exec_lo, s0
	s_and_saveexec_b32 s0, s15
	s_xor_b32 s0, exec_lo, s0
	s_cbranch_execz .LBB18_1078
.LBB18_1041:
	s_sext_i32_i16 s13, s14
	s_mov_b32 s7, -1
	s_cmp_lt_i32 s13, 5
	s_cbranch_scc1 .LBB18_1062
; %bb.1042:
	s_cmp_lt_i32 s13, 8
	s_cbranch_scc1 .LBB18_1052
; %bb.1043:
	;; [unrolled: 3-line block ×3, first 2 shown]
	s_cmp_gt_i32 s13, 9
	s_cbranch_scc0 .LBB18_1046
; %bb.1045:
	s_waitcnt vmcnt(0)
	v_cvt_f64_f32_e32 v[4:5], v0
	v_mov_b32_e32 v6, 0
	s_mov_b32 s7, 0
	v_mov_b32_e32 v7, v6
	global_store_dwordx4 v[2:3], v[4:7], off
.LBB18_1046:
	s_andn2_b32 vcc_lo, exec_lo, s7
	s_cbranch_vccnz .LBB18_1048
; %bb.1047:
	v_mov_b32_e32 v1, 0
	s_waitcnt vmcnt(0)
	global_store_dwordx2 v[2:3], v[0:1], off
.LBB18_1048:
	s_mov_b32 s7, 0
.LBB18_1049:
	s_andn2_b32 vcc_lo, exec_lo, s7
	s_cbranch_vccnz .LBB18_1051
; %bb.1050:
	v_cvt_f16_f32_e32 v1, v0
	v_and_b32_e32 v1, 0xffff, v1
	s_waitcnt vmcnt(0)
	global_store_dword v[2:3], v1, off
.LBB18_1051:
	s_mov_b32 s7, 0
.LBB18_1052:
	s_andn2_b32 vcc_lo, exec_lo, s7
	s_cbranch_vccnz .LBB18_1061
; %bb.1053:
	s_sext_i32_i16 s13, s14
	s_mov_b32 s7, -1
	s_cmp_lt_i32 s13, 6
	s_cbranch_scc1 .LBB18_1059
; %bb.1054:
	s_cmp_gt_i32 s13, 6
	s_cbranch_scc0 .LBB18_1056
; %bb.1055:
	s_waitcnt vmcnt(0)
	v_cvt_f64_f32_e32 v[4:5], v0
	s_mov_b32 s7, 0
	global_store_dwordx2 v[2:3], v[4:5], off
.LBB18_1056:
	s_andn2_b32 vcc_lo, exec_lo, s7
	s_cbranch_vccnz .LBB18_1058
; %bb.1057:
	s_waitcnt vmcnt(0)
	global_store_dword v[2:3], v0, off
.LBB18_1058:
	s_mov_b32 s7, 0
.LBB18_1059:
	s_andn2_b32 vcc_lo, exec_lo, s7
	s_cbranch_vccnz .LBB18_1061
; %bb.1060:
	v_cvt_f16_f32_e32 v1, v0
	s_waitcnt vmcnt(0)
	global_store_short v[2:3], v1, off
.LBB18_1061:
	s_mov_b32 s7, 0
.LBB18_1062:
	s_andn2_b32 vcc_lo, exec_lo, s7
	s_cbranch_vccnz .LBB18_1078
; %bb.1063:
	s_sext_i32_i16 s13, s14
	s_mov_b32 s7, -1
	s_cmp_lt_i32 s13, 2
	s_cbranch_scc1 .LBB18_1073
; %bb.1064:
	s_cmp_lt_i32 s13, 3
	s_cbranch_scc1 .LBB18_1070
; %bb.1065:
	s_cmp_gt_i32 s13, 3
	s_cbranch_scc0 .LBB18_1067
; %bb.1066:
	v_trunc_f32_e32 v1, v0
	s_mov_b32 s7, 0
	s_waitcnt vmcnt(0)
	v_mul_f32_e64 v4, 0x2f800000, |v1|
	v_floor_f32_e32 v4, v4
	v_fma_f32 v5, 0xcf800000, v4, |v1|
	v_ashrrev_i32_e32 v1, 31, v1
	v_cvt_u32_f32_e32 v4, v4
	v_cvt_u32_f32_e32 v5, v5
	v_xor_b32_e32 v6, v4, v1
	v_xor_b32_e32 v5, v5, v1
	v_sub_co_u32 v4, vcc_lo, v5, v1
	v_sub_co_ci_u32_e64 v5, null, v6, v1, vcc_lo
	global_store_dwordx2 v[2:3], v[4:5], off
.LBB18_1067:
	s_andn2_b32 vcc_lo, exec_lo, s7
	s_cbranch_vccnz .LBB18_1069
; %bb.1068:
	v_cvt_i32_f32_e32 v1, v0
	s_waitcnt vmcnt(0)
	global_store_dword v[2:3], v1, off
.LBB18_1069:
	s_mov_b32 s7, 0
.LBB18_1070:
	s_andn2_b32 vcc_lo, exec_lo, s7
	s_cbranch_vccnz .LBB18_1072
; %bb.1071:
	v_cvt_i32_f32_e32 v1, v0
	s_waitcnt vmcnt(0)
	global_store_short v[2:3], v1, off
.LBB18_1072:
	s_mov_b32 s7, 0
.LBB18_1073:
	s_andn2_b32 vcc_lo, exec_lo, s7
	s_cbranch_vccnz .LBB18_1078
; %bb.1074:
	s_sext_i32_i16 s7, s14
	s_cmp_gt_i32 s7, 0
	s_mov_b32 s7, -1
	s_cbranch_scc0 .LBB18_1076
; %bb.1075:
	v_cvt_i32_f32_e32 v1, v0
	s_mov_b32 s7, 0
	s_waitcnt vmcnt(0)
	global_store_byte v[2:3], v1, off
.LBB18_1076:
	s_andn2_b32 vcc_lo, exec_lo, s7
	s_cbranch_vccnz .LBB18_1078
; %bb.1077:
	v_trunc_f32_e32 v0, v0
	v_mul_f32_e64 v1, 0x2f800000, |v0|
	v_floor_f32_e32 v1, v1
	v_fma_f32 v1, 0xcf800000, v1, |v0|
	v_ashrrev_i32_e32 v0, 31, v0
	v_cvt_u32_f32_e32 v1, v1
	v_xor_b32_e32 v1, v1, v0
	v_sub_nc_u32_e32 v0, v1, v0
	s_waitcnt vmcnt(0)
	global_store_byte v[2:3], v0, off
.LBB18_1078:
	s_or_b32 exec_lo, exec_lo, s0
	s_and_b32 s7, s12, exec_lo
                                        ; implicit-def: $vgpr7
.LBB18_1079:
	s_or_saveexec_b32 s6, s6
	s_mov_b32 s0, 0
                                        ; implicit-def: $sgpr12
                                        ; implicit-def: $vgpr0_vgpr1
                                        ; implicit-def: $vgpr6
	s_xor_b32 exec_lo, exec_lo, s6
	s_cbranch_execz .LBB18_1724
; %bb.1080:
	s_waitcnt vmcnt(0)
	v_mul_lo_u32 v2, s3, v7
	s_and_b32 s5, 0xffff, s5
	s_cmp_lt_i32 s5, 11
	v_ashrrev_i32_e32 v1, 31, v2
	v_add_co_u32 v0, vcc_lo, s10, v2
	v_add_co_ci_u32_e64 v1, null, s11, v1, vcc_lo
	s_cbranch_scc1 .LBB18_1087
; %bb.1081:
	s_cmp_gt_i32 s5, 25
	s_mov_b32 s12, 0
	s_cbranch_scc0 .LBB18_1089
; %bb.1082:
	s_cmp_gt_i32 s5, 28
	s_cbranch_scc0 .LBB18_1090
; %bb.1083:
	s_cmp_gt_i32 s5, 43
	;; [unrolled: 3-line block ×3, first 2 shown]
	s_cbranch_scc0 .LBB18_1092
; %bb.1085:
	s_cmp_eq_u32 s5, 46
	s_cbranch_scc0 .LBB18_1095
; %bb.1086:
	global_load_dword v3, v[0:1], off
	s_mov_b32 s13, -1
	s_waitcnt vmcnt(0)
	v_lshlrev_b32_e32 v3, 16, v3
	s_branch .LBB18_1097
.LBB18_1087:
	s_mov_b32 s13, 0
	s_mov_b32 s4, s7
                                        ; implicit-def: $vgpr3
	s_cbranch_execnz .LBB18_1160
.LBB18_1088:
	s_andn2_b32 vcc_lo, exec_lo, s13
	s_cbranch_vccz .LBB18_1205
	s_branch .LBB18_1722
.LBB18_1089:
	s_mov_b32 s13, 0
                                        ; implicit-def: $vgpr3
	s_cbranch_execnz .LBB18_1125
	s_branch .LBB18_1156
.LBB18_1090:
	s_mov_b32 s4, -1
	s_mov_b32 s13, 0
                                        ; implicit-def: $vgpr3
	s_branch .LBB18_1106
.LBB18_1091:
	s_mov_b32 s13, 0
                                        ; implicit-def: $vgpr3
	s_cbranch_execnz .LBB18_1102
	s_branch .LBB18_1105
.LBB18_1092:
	s_mov_b32 s4, -1
	s_branch .LBB18_1096
.LBB18_1093:
	s_andn2_saveexec_b32 s18, s18
	s_cbranch_execz .LBB18_992
.LBB18_1094:
	v_add_f32_e64 v1, 0x46000000, |v0|
	s_andn2_b32 s17, s17, exec_lo
	v_and_b32_e32 v1, 0xff, v1
	v_cmp_ne_u32_e32 vcc_lo, 0, v1
	s_and_b32 s19, vcc_lo, exec_lo
	s_or_b32 s17, s17, s19
	s_or_b32 exec_lo, exec_lo, s18
	v_mov_b32_e32 v4, 0
	s_and_saveexec_b32 s18, s17
	s_cbranch_execnz .LBB18_993
	s_branch .LBB18_994
.LBB18_1095:
	s_mov_b32 s0, -1
.LBB18_1096:
	s_mov_b32 s13, 0
                                        ; implicit-def: $vgpr3
.LBB18_1097:
	s_and_b32 vcc_lo, exec_lo, s4
	s_cbranch_vccz .LBB18_1100
; %bb.1098:
	s_cmp_eq_u32 s5, 44
	s_cbranch_scc0 .LBB18_1101
; %bb.1099:
	global_load_ubyte v3, v[0:1], off
	s_mov_b32 s0, 0
	s_mov_b32 s13, -1
	s_waitcnt vmcnt(0)
	v_lshlrev_b32_e32 v4, 23, v3
	v_cmp_ne_u32_e32 vcc_lo, 0xff, v3
	v_cndmask_b32_e32 v4, 0x7f800001, v4, vcc_lo
	v_cmp_ne_u32_e32 vcc_lo, 0, v3
	v_cndmask_b32_e32 v3, 0x400000, v4, vcc_lo
.LBB18_1100:
	s_branch .LBB18_1105
.LBB18_1101:
	s_mov_b32 s0, -1
                                        ; implicit-def: $vgpr3
	s_branch .LBB18_1105
.LBB18_1102:
	s_cmp_eq_u32 s5, 29
	s_cbranch_scc0 .LBB18_1104
; %bb.1103:
	global_load_dwordx2 v[3:4], v[0:1], off
	s_mov_b32 s0, 0
	s_mov_b32 s13, -1
	s_mov_b32 s4, 0
	s_waitcnt vmcnt(0)
	v_ffbh_u32_e32 v5, v4
	v_min_u32_e32 v5, 32, v5
	v_lshlrev_b64 v[3:4], v5, v[3:4]
	v_min_u32_e32 v3, 1, v3
	v_or_b32_e32 v3, v4, v3
	v_sub_nc_u32_e32 v4, 32, v5
	v_cvt_f32_u32_e32 v3, v3
	v_ldexp_f32 v3, v3, v4
	s_branch .LBB18_1106
.LBB18_1104:
	s_mov_b32 s0, -1
                                        ; implicit-def: $vgpr3
.LBB18_1105:
	s_mov_b32 s4, 0
.LBB18_1106:
	s_and_b32 vcc_lo, exec_lo, s4
	s_cbranch_vccz .LBB18_1124
; %bb.1107:
	s_cmp_lt_i32 s5, 27
	s_cbranch_scc1 .LBB18_1110
; %bb.1108:
	s_cmp_gt_i32 s5, 27
	s_cbranch_scc0 .LBB18_1111
; %bb.1109:
	global_load_dword v3, v[0:1], off
	s_mov_b32 s4, 0
	s_waitcnt vmcnt(0)
	v_cvt_f32_u32_e32 v3, v3
	s_branch .LBB18_1112
.LBB18_1110:
	s_mov_b32 s4, -1
                                        ; implicit-def: $vgpr3
	s_branch .LBB18_1115
.LBB18_1111:
	s_mov_b32 s4, -1
                                        ; implicit-def: $vgpr3
.LBB18_1112:
	s_andn2_b32 vcc_lo, exec_lo, s4
	s_cbranch_vccnz .LBB18_1114
; %bb.1113:
	global_load_ushort v3, v[0:1], off
	s_waitcnt vmcnt(0)
	v_cvt_f32_u32_e32 v3, v3
.LBB18_1114:
	s_mov_b32 s4, 0
.LBB18_1115:
	s_andn2_b32 vcc_lo, exec_lo, s4
	s_cbranch_vccnz .LBB18_1123
; %bb.1116:
	global_load_ubyte v4, v[0:1], off
	s_mov_b32 s4, 0
	s_mov_b32 s13, exec_lo
	s_waitcnt vmcnt(0)
	v_cmpx_lt_i16_e32 0x7f, v4
	s_xor_b32 s13, exec_lo, s13
	s_cbranch_execz .LBB18_1136
; %bb.1117:
	s_mov_b32 s4, -1
	s_mov_b32 s14, exec_lo
	v_cmpx_eq_u16_e32 0x80, v4
; %bb.1118:
	s_xor_b32 s4, exec_lo, -1
; %bb.1119:
	s_or_b32 exec_lo, exec_lo, s14
	s_and_b32 s4, s4, exec_lo
	s_or_saveexec_b32 s13, s13
	v_mov_b32_e32 v3, 0x7f800001
	s_xor_b32 exec_lo, exec_lo, s13
	s_cbranch_execnz .LBB18_1137
.LBB18_1120:
	s_or_b32 exec_lo, exec_lo, s13
	s_and_saveexec_b32 s13, s4
	s_cbranch_execz .LBB18_1122
.LBB18_1121:
	v_and_b32_e32 v3, 0xffff, v4
	v_lshlrev_b32_e32 v4, 24, v4
	v_and_b32_e32 v5, 7, v3
	v_bfe_u32 v9, v3, 3, 4
	v_and_b32_e32 v4, 0x80000000, v4
	v_ffbh_u32_e32 v6, v5
	v_cmp_eq_u32_e32 vcc_lo, 0, v9
	v_min_u32_e32 v6, 32, v6
	v_subrev_nc_u32_e32 v8, 28, v6
	v_sub_nc_u32_e32 v6, 29, v6
	v_lshlrev_b32_e32 v3, v8, v3
	v_cndmask_b32_e32 v6, v9, v6, vcc_lo
	v_and_b32_e32 v3, 7, v3
	v_cndmask_b32_e32 v3, v5, v3, vcc_lo
	v_lshl_add_u32 v5, v6, 23, 0x3b800000
	v_lshlrev_b32_e32 v3, 20, v3
	v_or3_b32 v3, v4, v5, v3
.LBB18_1122:
	s_or_b32 exec_lo, exec_lo, s13
.LBB18_1123:
	s_mov_b32 s13, -1
.LBB18_1124:
	s_branch .LBB18_1156
.LBB18_1125:
	s_cmp_gt_i32 s5, 22
	s_cbranch_scc0 .LBB18_1135
; %bb.1126:
	s_cmp_lt_i32 s5, 24
	s_cbranch_scc1 .LBB18_1138
; %bb.1127:
	s_cmp_gt_i32 s5, 24
	s_cbranch_scc0 .LBB18_1139
; %bb.1128:
	global_load_ubyte v4, v[0:1], off
	s_mov_b32 s4, 0
	s_mov_b32 s12, exec_lo
	s_waitcnt vmcnt(0)
	v_cmpx_lt_i16_e32 0x7f, v4
	s_xor_b32 s12, exec_lo, s12
	s_cbranch_execz .LBB18_1150
; %bb.1129:
	s_mov_b32 s4, -1
	s_mov_b32 s13, exec_lo
	v_cmpx_eq_u16_e32 0x80, v4
; %bb.1130:
	s_xor_b32 s4, exec_lo, -1
; %bb.1131:
	s_or_b32 exec_lo, exec_lo, s13
	s_and_b32 s4, s4, exec_lo
	s_or_saveexec_b32 s12, s12
	v_mov_b32_e32 v3, 0x7f800001
	s_xor_b32 exec_lo, exec_lo, s12
	s_cbranch_execnz .LBB18_1151
.LBB18_1132:
	s_or_b32 exec_lo, exec_lo, s12
	s_and_saveexec_b32 s12, s4
	s_cbranch_execz .LBB18_1134
.LBB18_1133:
	v_and_b32_e32 v3, 0xffff, v4
	v_lshlrev_b32_e32 v4, 24, v4
	v_and_b32_e32 v5, 3, v3
	v_bfe_u32 v9, v3, 2, 5
	v_and_b32_e32 v4, 0x80000000, v4
	v_ffbh_u32_e32 v6, v5
	v_cmp_eq_u32_e32 vcc_lo, 0, v9
	v_min_u32_e32 v6, 32, v6
	v_subrev_nc_u32_e32 v8, 29, v6
	v_sub_nc_u32_e32 v6, 30, v6
	v_lshlrev_b32_e32 v3, v8, v3
	v_cndmask_b32_e32 v6, v9, v6, vcc_lo
	v_and_b32_e32 v3, 3, v3
	v_cndmask_b32_e32 v3, v5, v3, vcc_lo
	v_lshl_add_u32 v5, v6, 23, 0x37800000
	v_lshlrev_b32_e32 v3, 21, v3
	v_or3_b32 v3, v4, v5, v3
.LBB18_1134:
	s_or_b32 exec_lo, exec_lo, s12
	s_mov_b32 s4, 0
	s_branch .LBB18_1140
.LBB18_1135:
                                        ; implicit-def: $vgpr3
	s_mov_b32 s12, 0
	s_branch .LBB18_1146
.LBB18_1136:
	s_or_saveexec_b32 s13, s13
	v_mov_b32_e32 v3, 0x7f800001
	s_xor_b32 exec_lo, exec_lo, s13
	s_cbranch_execz .LBB18_1120
.LBB18_1137:
	v_cmp_ne_u16_e32 vcc_lo, 0, v4
	v_mov_b32_e32 v3, 0
	s_andn2_b32 s4, s4, exec_lo
	s_and_b32 s14, vcc_lo, exec_lo
	s_or_b32 s4, s4, s14
	s_or_b32 exec_lo, exec_lo, s13
	s_and_saveexec_b32 s13, s4
	s_cbranch_execnz .LBB18_1121
	s_branch .LBB18_1122
.LBB18_1138:
	s_mov_b32 s4, -1
                                        ; implicit-def: $vgpr3
	s_branch .LBB18_1143
.LBB18_1139:
	s_mov_b32 s4, -1
                                        ; implicit-def: $vgpr3
.LBB18_1140:
	s_and_b32 vcc_lo, exec_lo, s4
	s_cbranch_vccz .LBB18_1142
; %bb.1141:
	global_load_ubyte v3, v[0:1], off
	s_waitcnt vmcnt(0)
	v_lshlrev_b32_e32 v3, 24, v3
	v_and_b32_e32 v4, 0x7f000000, v3
	v_ffbh_u32_e32 v5, v4
	v_add_nc_u32_e32 v8, 0x1000000, v4
	v_cmp_ne_u32_e32 vcc_lo, 0, v4
	v_min_u32_e32 v5, 32, v5
	v_sub_nc_u32_e64 v5, v5, 4 clamp
	v_lshlrev_b32_e32 v6, v5, v4
	v_lshlrev_b32_e32 v5, 23, v5
	v_lshrrev_b32_e32 v6, 4, v6
	v_sub_nc_u32_e32 v5, v6, v5
	v_ashrrev_i32_e32 v6, 8, v8
	v_add_nc_u32_e32 v5, 0x3c000000, v5
	v_and_or_b32 v5, 0x7f800000, v6, v5
	v_cndmask_b32_e32 v4, 0, v5, vcc_lo
	v_and_or_b32 v3, 0x80000000, v3, v4
.LBB18_1142:
	s_mov_b32 s4, 0
.LBB18_1143:
	s_andn2_b32 vcc_lo, exec_lo, s4
	s_cbranch_vccnz .LBB18_1145
; %bb.1144:
	global_load_ubyte v3, v[0:1], off
	s_waitcnt vmcnt(0)
	v_lshlrev_b32_e32 v4, 25, v3
	v_lshlrev_b16 v3, 8, v3
	v_lshrrev_b32_e32 v5, 4, v4
	v_and_or_b32 v6, 0x7f00, v3, 0.5
	v_cmp_gt_u32_e32 vcc_lo, 0x8000000, v4
	v_bfe_i32 v3, v3, 0, 16
	v_or_b32_e32 v5, 0x70000000, v5
	v_add_f32_e32 v6, -0.5, v6
	v_mul_f32_e32 v5, 0x7800000, v5
	v_cndmask_b32_e32 v4, v5, v6, vcc_lo
	v_and_or_b32 v3, 0x80000000, v3, v4
.LBB18_1145:
	s_mov_b32 s13, -1
	s_mov_b32 s12, 0
	s_cbranch_execnz .LBB18_1156
.LBB18_1146:
	s_cmp_gt_i32 s5, 14
	s_cbranch_scc0 .LBB18_1149
; %bb.1147:
	s_cmp_eq_u32 s5, 15
	s_cbranch_scc0 .LBB18_1152
; %bb.1148:
	global_load_ushort v3, v[0:1], off
	s_mov_b32 s0, 0
	s_mov_b32 s13, -1
	s_waitcnt vmcnt(0)
	v_lshlrev_b32_e32 v3, 16, v3
	s_branch .LBB18_1153
.LBB18_1149:
	s_mov_b32 s4, -1
                                        ; implicit-def: $vgpr3
	s_branch .LBB18_1154
.LBB18_1150:
	s_or_saveexec_b32 s12, s12
	v_mov_b32_e32 v3, 0x7f800001
	s_xor_b32 exec_lo, exec_lo, s12
	s_cbranch_execz .LBB18_1132
.LBB18_1151:
	v_cmp_ne_u16_e32 vcc_lo, 0, v4
	v_mov_b32_e32 v3, 0
	s_andn2_b32 s4, s4, exec_lo
	s_and_b32 s13, vcc_lo, exec_lo
	s_or_b32 s4, s4, s13
	s_or_b32 exec_lo, exec_lo, s12
	s_and_saveexec_b32 s12, s4
	s_cbranch_execnz .LBB18_1133
	s_branch .LBB18_1134
.LBB18_1152:
	s_mov_b32 s0, -1
                                        ; implicit-def: $vgpr3
.LBB18_1153:
	s_mov_b32 s4, 0
.LBB18_1154:
	s_and_b32 vcc_lo, exec_lo, s4
	s_cbranch_vccz .LBB18_1156
; %bb.1155:
	s_cmp_lg_u32 s5, 11
	s_mov_b32 s12, -1
	s_cselect_b32 s0, -1, 0
.LBB18_1156:
	s_and_b32 vcc_lo, exec_lo, s0
	s_mov_b32 s4, s7
	s_cbranch_vccnz .LBB18_1229
; %bb.1157:
	s_andn2_b32 vcc_lo, exec_lo, s12
	s_cbranch_vccnz .LBB18_1159
.LBB18_1158:
	global_load_ubyte v3, v[0:1], off
	s_mov_b32 s13, -1
	s_waitcnt vmcnt(0)
	v_cmp_ne_u16_e32 vcc_lo, 0, v3
	v_cndmask_b32_e64 v3, 0, 1.0, vcc_lo
.LBB18_1159:
	s_branch .LBB18_1088
.LBB18_1160:
	s_cmp_lt_i32 s5, 5
	s_cbranch_scc1 .LBB18_1165
; %bb.1161:
	s_cmp_lt_i32 s5, 8
	s_cbranch_scc1 .LBB18_1166
; %bb.1162:
	;; [unrolled: 3-line block ×3, first 2 shown]
	s_cmp_gt_i32 s5, 9
	s_cbranch_scc0 .LBB18_1168
; %bb.1164:
	global_load_dwordx2 v[3:4], v[0:1], off
	s_mov_b32 s0, 0
	s_waitcnt vmcnt(0)
	v_cvt_f32_f64_e32 v3, v[3:4]
	s_branch .LBB18_1169
.LBB18_1165:
                                        ; implicit-def: $vgpr3
	s_branch .LBB18_1186
.LBB18_1166:
                                        ; implicit-def: $vgpr3
	s_branch .LBB18_1175
.LBB18_1167:
	s_mov_b32 s0, -1
                                        ; implicit-def: $vgpr3
	s_branch .LBB18_1172
.LBB18_1168:
	s_mov_b32 s0, -1
                                        ; implicit-def: $vgpr3
.LBB18_1169:
	s_andn2_b32 vcc_lo, exec_lo, s0
	s_cbranch_vccnz .LBB18_1171
; %bb.1170:
	global_load_dword v3, v[0:1], off
.LBB18_1171:
	s_mov_b32 s0, 0
.LBB18_1172:
	s_andn2_b32 vcc_lo, exec_lo, s0
	s_cbranch_vccnz .LBB18_1174
; %bb.1173:
	global_load_dword v3, v[0:1], off
	s_waitcnt vmcnt(0)
	v_cvt_f32_f16_e32 v3, v3
.LBB18_1174:
	s_cbranch_execnz .LBB18_1185
.LBB18_1175:
	s_cmp_lt_i32 s5, 6
	s_cbranch_scc1 .LBB18_1178
; %bb.1176:
	s_cmp_gt_i32 s5, 6
	s_cbranch_scc0 .LBB18_1179
; %bb.1177:
	global_load_dwordx2 v[3:4], v[0:1], off
	s_mov_b32 s0, 0
	s_waitcnt vmcnt(0)
	v_cvt_f32_f64_e32 v3, v[3:4]
	s_branch .LBB18_1180
.LBB18_1178:
	s_mov_b32 s0, -1
                                        ; implicit-def: $vgpr3
	s_branch .LBB18_1183
.LBB18_1179:
	s_mov_b32 s0, -1
                                        ; implicit-def: $vgpr3
.LBB18_1180:
	s_andn2_b32 vcc_lo, exec_lo, s0
	s_cbranch_vccnz .LBB18_1182
; %bb.1181:
	global_load_dword v3, v[0:1], off
.LBB18_1182:
	s_mov_b32 s0, 0
.LBB18_1183:
	s_andn2_b32 vcc_lo, exec_lo, s0
	s_cbranch_vccnz .LBB18_1185
; %bb.1184:
	global_load_ushort v3, v[0:1], off
	s_waitcnt vmcnt(0)
	v_cvt_f32_f16_e32 v3, v3
.LBB18_1185:
	s_cbranch_execnz .LBB18_1204
.LBB18_1186:
	s_cmp_lt_i32 s5, 2
	s_cbranch_scc1 .LBB18_1190
; %bb.1187:
	s_cmp_lt_i32 s5, 3
	s_cbranch_scc1 .LBB18_1191
; %bb.1188:
	s_cmp_gt_i32 s5, 3
	s_cbranch_scc0 .LBB18_1192
; %bb.1189:
	global_load_dwordx2 v[3:4], v[0:1], off
	s_mov_b32 s0, 0
	s_waitcnt vmcnt(0)
	v_xor_b32_e32 v5, v3, v4
	v_ffbh_i32_e32 v6, v4
	v_ashrrev_i32_e32 v5, 31, v5
	v_add_nc_u32_e32 v6, -1, v6
	v_add_nc_u32_e32 v5, 32, v5
	v_min_u32_e32 v5, v6, v5
	v_lshlrev_b64 v[3:4], v5, v[3:4]
	v_min_u32_e32 v3, 1, v3
	v_or_b32_e32 v3, v4, v3
	v_sub_nc_u32_e32 v4, 32, v5
	v_cvt_f32_i32_e32 v3, v3
	v_ldexp_f32 v3, v3, v4
	s_branch .LBB18_1193
.LBB18_1190:
                                        ; implicit-def: $vgpr3
	s_branch .LBB18_1199
.LBB18_1191:
	s_mov_b32 s0, -1
                                        ; implicit-def: $vgpr3
	s_branch .LBB18_1196
.LBB18_1192:
	s_mov_b32 s0, -1
                                        ; implicit-def: $vgpr3
.LBB18_1193:
	s_andn2_b32 vcc_lo, exec_lo, s0
	s_cbranch_vccnz .LBB18_1195
; %bb.1194:
	global_load_dword v3, v[0:1], off
	s_waitcnt vmcnt(0)
	v_cvt_f32_i32_e32 v3, v3
.LBB18_1195:
	s_mov_b32 s0, 0
.LBB18_1196:
	s_andn2_b32 vcc_lo, exec_lo, s0
	s_cbranch_vccnz .LBB18_1198
; %bb.1197:
	global_load_sshort v3, v[0:1], off
	s_waitcnt vmcnt(0)
	v_cvt_f32_i32_e32 v3, v3
.LBB18_1198:
	s_cbranch_execnz .LBB18_1204
.LBB18_1199:
	s_cmp_gt_i32 s5, 0
	s_mov_b32 s0, 0
	s_cbranch_scc0 .LBB18_1201
; %bb.1200:
	global_load_sbyte v3, v[0:1], off
	s_waitcnt vmcnt(0)
	v_cvt_f32_i32_e32 v3, v3
	s_branch .LBB18_1202
.LBB18_1201:
	s_mov_b32 s0, -1
                                        ; implicit-def: $vgpr3
.LBB18_1202:
	s_andn2_b32 vcc_lo, exec_lo, s0
	s_cbranch_vccnz .LBB18_1204
; %bb.1203:
	global_load_ubyte v0, v[0:1], off
	s_waitcnt vmcnt(0)
	v_cvt_f32_ubyte0_e32 v3, v0
.LBB18_1204:
.LBB18_1205:
	s_waitcnt vmcnt(0)
	v_mul_f32_e64 v1, 0x3fb8aa3b, |v3|
	s_mov_b32 s12, exec_lo
                                        ; implicit-def: $vgpr0
	v_cmpx_ge_f32_e64 0x41000000, |v3|
	s_xor_b32 s12, exec_lo, s12
	s_cbranch_execz .LBB18_1211
; %bb.1206:
	v_fma_f32 v0, |v3|, 0.5, -2.0
	s_mov_b32 s0, 0x224cf950
	v_rndne_f32_e32 v6, v1
	v_fma_f32 v8, 0x3fb8aa3b, |v3|, -v1
	v_cmp_ngt_f32_e64 vcc_lo, 0xc2ce8ed0, |v3|
	v_fmaak_f32 v4, s0, v0, 0xa3c2be86
	v_cmp_nlt_f32_e64 s0, 0x42b17218, |v3|
	v_sub_f32_e32 v1, v1, v6
	v_fma_f32 v8, 0x32a5705f, |v3|, v8
	v_fmaak_f32 v5, v0, v4, 0xa24cf950
	v_add_f32_e32 v1, v1, v8
	v_add_f32_e32 v5, 0x25331f1f, v5
	v_exp_f32_e32 v1, v1
	v_fma_f32 v4, v0, v5, -v4
	v_add_f32_e32 v4, 0xa69f5554, v4
	v_fma_f32 v5, v0, v4, -v5
	v_add_f32_e32 v5, 0x2808ebf8, v5
	v_fma_f32 v4, v0, v5, -v4
	v_add_f32_e32 v4, 0xa9631471, v4
	v_fma_f32 v5, v0, v4, -v5
	v_add_f32_e32 v5, 0x2ab57bc2, v5
	v_fma_f32 v4, v0, v5, -v4
	v_add_f32_e32 v4, 0xac0b9c1b, v4
	v_fma_f32 v5, v0, v4, -v5
	v_add_f32_e32 v5, 0x2d4e7716, v5
	v_fma_f32 v4, v0, v5, -v4
	v_add_f32_e32 v4, 0xae92881d, v4
	v_fma_f32 v5, v0, v4, -v5
	v_add_f32_e32 v5, 0x2fc751a6, v5
	v_fma_f32 v4, v0, v5, -v4
	v_add_f32_e32 v4, 0xb101b0d9, v4
	v_fma_f32 v5, v0, v4, -v5
	v_add_f32_e32 v5, 0x32212c70, v5
	v_fma_f32 v4, v0, v5, -v4
	v_add_f32_e32 v4, 0xb33ee9f1, v4
	v_fma_f32 v5, v0, v4, -v5
	v_add_f32_e32 v5, 0x34571a26, v5
	v_fma_f32 v4, v0, v5, -v4
	v_add_f32_e32 v4, 0xb56603cc, v4
	v_fma_f32 v5, v0, v4, -v5
	v_add_f32_e32 v5, 0x3668e277, v5
	v_fma_f32 v4, v0, v5, -v4
	v_add_f32_e32 v4, 0xb75eafce, v4
	v_fma_f32 v5, v0, v4, -v5
	v_add_f32_e32 v5, 0x38488daa, v5
	v_fma_f32 v4, v0, v5, -v4
	v_add_f32_e32 v4, 0xb9299e57, v4
	v_fma_f32 v5, v0, v4, -v5
	v_add_f32_e32 v5, 0x3a064aee, v5
	v_fma_f32 v4, v0, v5, -v4
	v_add_f32_e32 v4, 0xbac66310, v4
	v_fma_f32 v5, v0, v4, -v5
	v_add_f32_e32 v5, 0x3b88329a, v5
	v_fma_f32 v4, v0, v5, -v4
	v_add_f32_e32 v4, 0xbc2d14fc, v4
	v_fma_f32 v5, v0, v4, -v5
	v_add_f32_e32 v5, 0x3cca8f1f, v5
	v_fma_f32 v4, v0, v5, -v4
	v_add_f32_e32 v4, 0xbd58dde3, v4
	v_fma_f32 v5, v0, v4, -v5
	v_add_f32_e32 v5, 0x3dd236d7, v5
	v_fma_f32 v4, v0, v5, -v4
	v_add_f32_e32 v4, 0xbe34a688, v4
	v_fma_f32 v0, v0, v4, -v5
	v_cvt_i32_f32_e32 v4, v6
	v_add_f32_e32 v0, 0x3e81531c, v0
	v_ldexp_f32 v1, v1, v4
	v_sub_f32_e32 v0, v0, v5
	v_cndmask_b32_e32 v4, 0, v1, vcc_lo
	v_cmp_ngt_f32_e32 vcc_lo, 0, v3
	v_mul_f32_e32 v0, 0.5, v0
	v_mul_f32_e64 v1, |v3|, v0
	v_cndmask_b32_e64 v3, 0x7f800000, v4, s0
                                        ; implicit-def: $vgpr0
	s_and_saveexec_b32 s0, vcc_lo
	s_xor_b32 s0, exec_lo, s0
; %bb.1207:
	v_mul_f32_e32 v0, v3, v1
                                        ; implicit-def: $vgpr3
                                        ; implicit-def: $vgpr1
; %bb.1208:
	s_andn2_saveexec_b32 s0, s0
; %bb.1209:
	v_mul_f32_e64 v0, v1, -v3
; %bb.1210:
	s_or_b32 exec_lo, exec_lo, s0
                                        ; implicit-def: $vgpr3
                                        ; implicit-def: $vgpr1
.LBB18_1211:
	s_andn2_saveexec_b32 s12, s12
	s_cbranch_execz .LBB18_1217
; %bb.1212:
	v_and_b32_e32 v0, 0x7fffffff, v3
	s_mov_b32 s0, 0x230aab6e
	v_div_scale_f32 v4, null, v0, v0, 0x42000000
	v_div_scale_f32 v0, vcc_lo, 0x42000000, v0, 0x42000000
	v_rcp_f32_e32 v5, v4
	v_fma_f32 v6, -v4, v5, 1.0
	v_fmac_f32_e32 v5, v6, v5
	v_mul_f32_e32 v6, v0, v5
	v_fma_f32 v8, -v4, v6, v0
	v_fmac_f32_e32 v6, v8, v5
	v_fma_f32 v8, 0x3fb8aa3b, |v3|, -v1
	v_fma_f32 v0, -v4, v6, v0
	v_fma_f32 v8, 0x32a5705f, |v3|, v8
	v_div_fmas_f32 v0, v0, v5, v6
	v_rndne_f32_e32 v6, v1
	v_cmp_ngt_f32_e64 vcc_lo, 0xc2ce8ed0, |v3|
	v_div_fixup_f32 v0, v0, |v3|, 0x42000000
	v_sub_f32_e32 v1, v1, v6
	v_cvt_i32_f32_e32 v6, v6
	v_add_f32_e32 v0, -2.0, v0
	v_add_f32_e32 v1, v1, v8
	v_fmaak_f32 v4, s0, v0, 0x22a2dc57
	v_exp_f32_e32 v1, v1
	v_cmp_nlt_f32_e64 s0, 0x42b17218, |v3|
	v_fmaak_f32 v5, v0, v4, 0xa30aab6e
	v_add_f32_e32 v5, 0xa456751e, v5
	v_ldexp_f32 v1, v1, v6
	v_fma_f32 v4, v0, v5, -v4
	v_cndmask_b32_e32 v1, 0, v1, vcc_lo
	v_add_f32_e32 v4, 0xa4140365, v4
	v_cndmask_b32_e64 v1, 0x7f800000, v1, s0
	s_mov_b32 s0, exec_lo
	v_fma_f32 v5, v0, v4, -v5
	v_add_f32_e32 v5, 0x25aac8b0, v5
	v_fma_f32 v4, v0, v5, -v4
	v_add_f32_e32 v4, 0x25beb473, v4
	;; [unrolled: 2-line block ×21, first 2 shown]
	v_sub_f32_e32 v4, v0, v5
	v_mul_f32_e64 v5, 0x4f800000, |v3|
                                        ; implicit-def: $vgpr0
	v_cmpx_ngt_f32_e32 0, v3
	s_xor_b32 s13, exec_lo, s0
	s_cbranch_execz .LBB18_1214
; %bb.1213:
	v_cmp_gt_f32_e64 vcc_lo, 0xf800000, |v3|
	v_mul_f32_e32 v4, 0.5, v4
	v_cndmask_b32_e64 v0, |v3|, v5, vcc_lo
	v_mul_f32_e32 v1, v1, v4
	v_sqrt_f32_e32 v3, v0
	v_add_nc_u32_e32 v5, -1, v3
	v_add_nc_u32_e32 v6, 1, v3
	v_fma_f32 v8, -v5, v3, v0
	v_fma_f32 v9, -v6, v3, v0
	v_cmp_ge_f32_e64 s0, 0, v8
	v_cndmask_b32_e64 v3, v3, v5, s0
	v_cmp_lt_f32_e64 s0, 0, v9
	v_cndmask_b32_e64 v3, v3, v6, s0
	v_mul_f32_e32 v5, 0x37800000, v3
	v_cndmask_b32_e32 v3, v3, v5, vcc_lo
	v_cmp_class_f32_e64 vcc_lo, v0, 0x260
	v_cndmask_b32_e32 v0, v3, v0, vcc_lo
	v_div_scale_f32 v3, null, v0, v0, v1
	v_rcp_f32_e32 v4, v3
	v_fma_f32 v5, -v3, v4, 1.0
	v_fmac_f32_e32 v4, v5, v4
	v_div_scale_f32 v5, vcc_lo, v1, v0, v1
	v_mul_f32_e32 v6, v5, v4
	v_fma_f32 v8, -v3, v6, v5
	v_fmac_f32_e32 v6, v8, v4
	v_fma_f32 v3, -v3, v6, v5
                                        ; implicit-def: $vgpr5
	v_div_fmas_f32 v3, v3, v4, v6
                                        ; implicit-def: $vgpr4
	v_div_fixup_f32 v0, v3, v0, v1
                                        ; implicit-def: $vgpr3
                                        ; implicit-def: $vgpr1
.LBB18_1214:
	s_andn2_saveexec_b32 s13, s13
	s_cbranch_execz .LBB18_1216
; %bb.1215:
	v_cmp_gt_f32_e64 vcc_lo, 0xf800000, |v3|
	v_mul_f32_e32 v4, -0.5, v4
	v_cndmask_b32_e64 v0, |v3|, v5, vcc_lo
	v_mul_f32_e32 v1, v1, v4
	v_sqrt_f32_e32 v3, v0
	v_add_nc_u32_e32 v5, -1, v3
	v_add_nc_u32_e32 v6, 1, v3
	v_fma_f32 v8, -v5, v3, v0
	v_fma_f32 v9, -v6, v3, v0
	v_cmp_ge_f32_e64 s0, 0, v8
	v_cndmask_b32_e64 v3, v3, v5, s0
	v_cmp_lt_f32_e64 s0, 0, v9
	v_cndmask_b32_e64 v3, v3, v6, s0
	v_mul_f32_e32 v5, 0x37800000, v3
	v_cndmask_b32_e32 v3, v3, v5, vcc_lo
	v_cmp_class_f32_e64 vcc_lo, v0, 0x260
	v_cndmask_b32_e32 v0, v3, v0, vcc_lo
	v_div_scale_f32 v3, null, v0, v0, v1
	v_rcp_f32_e32 v4, v3
	v_fma_f32 v5, -v3, v4, 1.0
	v_fmac_f32_e32 v4, v5, v4
	v_div_scale_f32 v5, vcc_lo, v1, v0, v1
	v_mul_f32_e32 v6, v5, v4
	v_fma_f32 v8, -v3, v6, v5
	v_fmac_f32_e32 v6, v8, v4
	v_fma_f32 v3, -v3, v6, v5
	v_div_fmas_f32 v3, v3, v4, v6
	v_div_fixup_f32 v0, v3, v0, v1
.LBB18_1216:
	s_or_b32 exec_lo, exec_lo, s13
.LBB18_1217:
	s_or_b32 exec_lo, exec_lo, s12
	s_lshl_b32 s3, s3, 7
	s_cmp_lt_i32 s5, 11
	v_add_nc_u32_e32 v3, s3, v2
	v_ashrrev_i32_e32 v2, 31, v3
	v_add_co_u32 v1, vcc_lo, s10, v3
	v_add_co_ci_u32_e64 v2, null, s11, v2, vcc_lo
	s_cbranch_scc1 .LBB18_1224
; %bb.1218:
	s_cmp_gt_i32 s5, 25
	s_mov_b32 s12, 0
	s_cbranch_scc0 .LBB18_1226
; %bb.1219:
	s_cmp_gt_i32 s5, 28
	s_cbranch_scc0 .LBB18_1227
; %bb.1220:
	s_cmp_gt_i32 s5, 43
	;; [unrolled: 3-line block ×3, first 2 shown]
	s_cbranch_scc0 .LBB18_1230
; %bb.1222:
	s_cmp_eq_u32 s5, 46
	s_mov_b32 s14, 0
	s_cbranch_scc0 .LBB18_1233
; %bb.1223:
	global_load_dword v4, v[1:2], off
	s_mov_b32 s0, 0
	s_mov_b32 s13, -1
	s_waitcnt vmcnt(0)
	v_lshlrev_b32_e32 v4, 16, v4
	s_branch .LBB18_1235
.LBB18_1224:
	s_mov_b32 s13, 0
                                        ; implicit-def: $vgpr4
	s_cbranch_execnz .LBB18_1300
.LBB18_1225:
	s_andn2_b32 vcc_lo, exec_lo, s13
	s_cbranch_vccnz .LBB18_1722
	s_branch .LBB18_1347
.LBB18_1226:
	s_mov_b32 s13, 0
	s_mov_b32 s0, 0
                                        ; implicit-def: $vgpr4
	s_cbranch_execnz .LBB18_1264
	s_branch .LBB18_1296
.LBB18_1227:
	s_mov_b32 s14, -1
	s_mov_b32 s13, 0
	s_mov_b32 s0, 0
                                        ; implicit-def: $vgpr4
	s_branch .LBB18_1245
.LBB18_1228:
	s_mov_b32 s14, -1
	s_mov_b32 s13, 0
	s_mov_b32 s0, 0
                                        ; implicit-def: $vgpr4
	s_branch .LBB18_1240
.LBB18_1229:
	s_or_b32 s4, s7, exec_lo
	s_trap 2
	s_cbranch_execz .LBB18_1158
	s_branch .LBB18_1159
.LBB18_1230:
	s_mov_b32 s14, -1
	s_mov_b32 s13, 0
	s_mov_b32 s0, 0
	s_branch .LBB18_1234
.LBB18_1231:
	s_andn2_saveexec_b32 s19, s19
	s_cbranch_execz .LBB18_1004
.LBB18_1232:
	v_add_f32_e64 v1, 0x42800000, |v0|
	s_andn2_b32 s18, s18, exec_lo
	v_and_b32_e32 v1, 0xff, v1
	v_cmp_ne_u32_e32 vcc_lo, 0, v1
	s_and_b32 s20, vcc_lo, exec_lo
	s_or_b32 s18, s18, s20
	s_or_b32 exec_lo, exec_lo, s19
	v_mov_b32_e32 v4, 0
	s_and_saveexec_b32 s19, s18
	s_cbranch_execnz .LBB18_1005
	s_branch .LBB18_1006
.LBB18_1233:
	s_mov_b32 s0, -1
	s_mov_b32 s13, 0
.LBB18_1234:
                                        ; implicit-def: $vgpr4
.LBB18_1235:
	s_and_b32 vcc_lo, exec_lo, s14
	s_cbranch_vccz .LBB18_1239
; %bb.1236:
	s_cmp_eq_u32 s5, 44
	s_cbranch_scc0 .LBB18_1238
; %bb.1237:
	global_load_ubyte v4, v[1:2], off
	s_mov_b32 s0, 0
	s_mov_b32 s13, -1
	s_waitcnt vmcnt(0)
	v_lshlrev_b32_e32 v5, 23, v4
	v_cmp_ne_u32_e32 vcc_lo, 0xff, v4
	v_cndmask_b32_e32 v5, 0x7f800001, v5, vcc_lo
	v_cmp_ne_u32_e32 vcc_lo, 0, v4
	v_cndmask_b32_e32 v4, 0x400000, v5, vcc_lo
	s_branch .LBB18_1239
.LBB18_1238:
	s_mov_b32 s0, -1
                                        ; implicit-def: $vgpr4
.LBB18_1239:
	s_mov_b32 s14, 0
.LBB18_1240:
	s_and_b32 vcc_lo, exec_lo, s14
	s_cbranch_vccz .LBB18_1244
; %bb.1241:
	s_cmp_eq_u32 s5, 29
	s_cbranch_scc0 .LBB18_1243
; %bb.1242:
	global_load_dwordx2 v[4:5], v[1:2], off
	s_mov_b32 s0, 0
	s_mov_b32 s13, -1
	s_mov_b32 s14, 0
	s_waitcnt vmcnt(0)
	v_ffbh_u32_e32 v6, v5
	v_min_u32_e32 v6, 32, v6
	v_lshlrev_b64 v[4:5], v6, v[4:5]
	v_min_u32_e32 v4, 1, v4
	v_or_b32_e32 v4, v5, v4
	v_sub_nc_u32_e32 v5, 32, v6
	v_cvt_f32_u32_e32 v4, v4
	v_ldexp_f32 v4, v4, v5
	s_branch .LBB18_1245
.LBB18_1243:
	s_mov_b32 s0, -1
                                        ; implicit-def: $vgpr4
.LBB18_1244:
	s_mov_b32 s14, 0
.LBB18_1245:
	s_and_b32 vcc_lo, exec_lo, s14
	s_cbranch_vccz .LBB18_1263
; %bb.1246:
	s_cmp_lt_i32 s5, 27
	s_cbranch_scc1 .LBB18_1249
; %bb.1247:
	s_cmp_gt_i32 s5, 27
	s_cbranch_scc0 .LBB18_1250
; %bb.1248:
	global_load_dword v4, v[1:2], off
	s_mov_b32 s13, 0
	s_waitcnt vmcnt(0)
	v_cvt_f32_u32_e32 v4, v4
	s_branch .LBB18_1251
.LBB18_1249:
	s_mov_b32 s13, -1
                                        ; implicit-def: $vgpr4
	s_branch .LBB18_1254
.LBB18_1250:
	s_mov_b32 s13, -1
                                        ; implicit-def: $vgpr4
.LBB18_1251:
	s_andn2_b32 vcc_lo, exec_lo, s13
	s_cbranch_vccnz .LBB18_1253
; %bb.1252:
	global_load_ushort v4, v[1:2], off
	s_waitcnt vmcnt(0)
	v_cvt_f32_u32_e32 v4, v4
.LBB18_1253:
	s_mov_b32 s13, 0
.LBB18_1254:
	s_andn2_b32 vcc_lo, exec_lo, s13
	s_cbranch_vccnz .LBB18_1262
; %bb.1255:
	global_load_ubyte v5, v[1:2], off
	s_mov_b32 s13, 0
	s_mov_b32 s14, exec_lo
	s_waitcnt vmcnt(0)
	v_cmpx_lt_i16_e32 0x7f, v5
	s_xor_b32 s14, exec_lo, s14
	s_cbranch_execz .LBB18_1275
; %bb.1256:
	s_mov_b32 s13, -1
	s_mov_b32 s15, exec_lo
	v_cmpx_eq_u16_e32 0x80, v5
; %bb.1257:
	s_xor_b32 s13, exec_lo, -1
; %bb.1258:
	s_or_b32 exec_lo, exec_lo, s15
	s_and_b32 s13, s13, exec_lo
	s_or_saveexec_b32 s14, s14
	v_mov_b32_e32 v4, 0x7f800001
	s_xor_b32 exec_lo, exec_lo, s14
	s_cbranch_execnz .LBB18_1276
.LBB18_1259:
	s_or_b32 exec_lo, exec_lo, s14
	s_and_saveexec_b32 s14, s13
	s_cbranch_execz .LBB18_1261
.LBB18_1260:
	v_and_b32_e32 v4, 0xffff, v5
	v_lshlrev_b32_e32 v5, 24, v5
	v_and_b32_e32 v6, 7, v4
	v_bfe_u32 v10, v4, 3, 4
	v_and_b32_e32 v5, 0x80000000, v5
	v_ffbh_u32_e32 v8, v6
	v_cmp_eq_u32_e32 vcc_lo, 0, v10
	v_min_u32_e32 v8, 32, v8
	v_subrev_nc_u32_e32 v9, 28, v8
	v_sub_nc_u32_e32 v8, 29, v8
	v_lshlrev_b32_e32 v4, v9, v4
	v_cndmask_b32_e32 v8, v10, v8, vcc_lo
	v_and_b32_e32 v4, 7, v4
	v_cndmask_b32_e32 v4, v6, v4, vcc_lo
	v_lshl_add_u32 v6, v8, 23, 0x3b800000
	v_lshlrev_b32_e32 v4, 20, v4
	v_or3_b32 v4, v5, v6, v4
.LBB18_1261:
	s_or_b32 exec_lo, exec_lo, s14
.LBB18_1262:
	s_mov_b32 s13, -1
.LBB18_1263:
	s_branch .LBB18_1296
.LBB18_1264:
	s_cmp_gt_i32 s5, 22
	s_cbranch_scc0 .LBB18_1274
; %bb.1265:
	s_cmp_lt_i32 s5, 24
	s_cbranch_scc1 .LBB18_1277
; %bb.1266:
	s_cmp_gt_i32 s5, 24
	s_cbranch_scc0 .LBB18_1278
; %bb.1267:
	global_load_ubyte v5, v[1:2], off
	s_mov_b32 s13, exec_lo
	s_waitcnt vmcnt(0)
	v_cmpx_lt_i16_e32 0x7f, v5
	s_xor_b32 s13, exec_lo, s13
	s_cbranch_execz .LBB18_1290
; %bb.1268:
	s_mov_b32 s12, -1
	s_mov_b32 s14, exec_lo
	v_cmpx_eq_u16_e32 0x80, v5
; %bb.1269:
	s_xor_b32 s12, exec_lo, -1
; %bb.1270:
	s_or_b32 exec_lo, exec_lo, s14
	s_and_b32 s12, s12, exec_lo
	s_or_saveexec_b32 s13, s13
	v_mov_b32_e32 v4, 0x7f800001
	s_xor_b32 exec_lo, exec_lo, s13
	s_cbranch_execnz .LBB18_1291
.LBB18_1271:
	s_or_b32 exec_lo, exec_lo, s13
	s_and_saveexec_b32 s13, s12
	s_cbranch_execz .LBB18_1273
.LBB18_1272:
	v_and_b32_e32 v4, 0xffff, v5
	v_lshlrev_b32_e32 v5, 24, v5
	v_and_b32_e32 v6, 3, v4
	v_bfe_u32 v10, v4, 2, 5
	v_and_b32_e32 v5, 0x80000000, v5
	v_ffbh_u32_e32 v8, v6
	v_cmp_eq_u32_e32 vcc_lo, 0, v10
	v_min_u32_e32 v8, 32, v8
	v_subrev_nc_u32_e32 v9, 29, v8
	v_sub_nc_u32_e32 v8, 30, v8
	v_lshlrev_b32_e32 v4, v9, v4
	v_cndmask_b32_e32 v8, v10, v8, vcc_lo
	v_and_b32_e32 v4, 3, v4
	v_cndmask_b32_e32 v4, v6, v4, vcc_lo
	v_lshl_add_u32 v6, v8, 23, 0x37800000
	v_lshlrev_b32_e32 v4, 21, v4
	v_or3_b32 v4, v5, v6, v4
.LBB18_1273:
	s_or_b32 exec_lo, exec_lo, s13
	s_mov_b32 s12, 0
	s_branch .LBB18_1279
.LBB18_1274:
	s_mov_b32 s12, -1
                                        ; implicit-def: $vgpr4
	s_branch .LBB18_1285
.LBB18_1275:
	s_or_saveexec_b32 s14, s14
	v_mov_b32_e32 v4, 0x7f800001
	s_xor_b32 exec_lo, exec_lo, s14
	s_cbranch_execz .LBB18_1259
.LBB18_1276:
	v_cmp_ne_u16_e32 vcc_lo, 0, v5
	v_mov_b32_e32 v4, 0
	s_andn2_b32 s13, s13, exec_lo
	s_and_b32 s15, vcc_lo, exec_lo
	s_or_b32 s13, s13, s15
	s_or_b32 exec_lo, exec_lo, s14
	s_and_saveexec_b32 s14, s13
	s_cbranch_execnz .LBB18_1260
	s_branch .LBB18_1261
.LBB18_1277:
	s_mov_b32 s12, -1
                                        ; implicit-def: $vgpr4
	s_branch .LBB18_1282
.LBB18_1278:
	s_mov_b32 s12, -1
                                        ; implicit-def: $vgpr4
.LBB18_1279:
	s_and_b32 vcc_lo, exec_lo, s12
	s_cbranch_vccz .LBB18_1281
; %bb.1280:
	global_load_ubyte v4, v[1:2], off
	s_waitcnt vmcnt(0)
	v_lshlrev_b32_e32 v4, 24, v4
	v_and_b32_e32 v5, 0x7f000000, v4
	v_ffbh_u32_e32 v6, v5
	v_add_nc_u32_e32 v9, 0x1000000, v5
	v_cmp_ne_u32_e32 vcc_lo, 0, v5
	v_min_u32_e32 v6, 32, v6
	v_sub_nc_u32_e64 v6, v6, 4 clamp
	v_lshlrev_b32_e32 v8, v6, v5
	v_lshlrev_b32_e32 v6, 23, v6
	v_lshrrev_b32_e32 v8, 4, v8
	v_sub_nc_u32_e32 v6, v8, v6
	v_ashrrev_i32_e32 v8, 8, v9
	v_add_nc_u32_e32 v6, 0x3c000000, v6
	v_and_or_b32 v6, 0x7f800000, v8, v6
	v_cndmask_b32_e32 v5, 0, v6, vcc_lo
	v_and_or_b32 v4, 0x80000000, v4, v5
.LBB18_1281:
	s_mov_b32 s12, 0
.LBB18_1282:
	s_andn2_b32 vcc_lo, exec_lo, s12
	s_cbranch_vccnz .LBB18_1284
; %bb.1283:
	global_load_ubyte v4, v[1:2], off
	s_waitcnt vmcnt(0)
	v_lshlrev_b32_e32 v5, 25, v4
	v_lshlrev_b16 v4, 8, v4
	v_lshrrev_b32_e32 v6, 4, v5
	v_and_or_b32 v8, 0x7f00, v4, 0.5
	v_cmp_gt_u32_e32 vcc_lo, 0x8000000, v5
	v_bfe_i32 v4, v4, 0, 16
	v_or_b32_e32 v6, 0x70000000, v6
	v_add_f32_e32 v8, -0.5, v8
	v_mul_f32_e32 v6, 0x7800000, v6
	v_cndmask_b32_e32 v5, v6, v8, vcc_lo
	v_and_or_b32 v4, 0x80000000, v4, v5
.LBB18_1284:
	s_mov_b32 s12, 0
	s_mov_b32 s13, -1
.LBB18_1285:
	s_andn2_b32 vcc_lo, exec_lo, s12
	s_mov_b32 s12, 0
	s_cbranch_vccnz .LBB18_1296
; %bb.1286:
	s_cmp_gt_i32 s5, 14
	s_cbranch_scc0 .LBB18_1289
; %bb.1287:
	s_cmp_eq_u32 s5, 15
	s_cbranch_scc0 .LBB18_1292
; %bb.1288:
	global_load_ushort v4, v[1:2], off
	s_mov_b32 s0, 0
	s_mov_b32 s13, -1
	s_waitcnt vmcnt(0)
	v_lshlrev_b32_e32 v4, 16, v4
	s_branch .LBB18_1294
.LBB18_1289:
	s_mov_b32 s12, -1
	s_branch .LBB18_1293
.LBB18_1290:
	s_or_saveexec_b32 s13, s13
	v_mov_b32_e32 v4, 0x7f800001
	s_xor_b32 exec_lo, exec_lo, s13
	s_cbranch_execz .LBB18_1271
.LBB18_1291:
	v_cmp_ne_u16_e32 vcc_lo, 0, v5
	v_mov_b32_e32 v4, 0
	s_andn2_b32 s12, s12, exec_lo
	s_and_b32 s14, vcc_lo, exec_lo
	s_or_b32 s12, s12, s14
	s_or_b32 exec_lo, exec_lo, s13
	s_and_saveexec_b32 s13, s12
	s_cbranch_execnz .LBB18_1272
	s_branch .LBB18_1273
.LBB18_1292:
	s_mov_b32 s0, -1
.LBB18_1293:
                                        ; implicit-def: $vgpr4
.LBB18_1294:
	s_and_b32 vcc_lo, exec_lo, s12
	s_mov_b32 s12, 0
	s_cbranch_vccz .LBB18_1296
; %bb.1295:
	s_cmp_lg_u32 s5, 11
	s_mov_b32 s12, -1
	s_cselect_b32 s0, -1, 0
.LBB18_1296:
	s_and_b32 vcc_lo, exec_lo, s0
	s_cbranch_vccnz .LBB18_1371
; %bb.1297:
	s_andn2_b32 vcc_lo, exec_lo, s12
	s_cbranch_vccnz .LBB18_1299
.LBB18_1298:
	global_load_ubyte v4, v[1:2], off
	s_mov_b32 s13, -1
	s_waitcnt vmcnt(0)
	v_cmp_ne_u16_e32 vcc_lo, 0, v4
	v_cndmask_b32_e64 v4, 0, 1.0, vcc_lo
.LBB18_1299:
	s_branch .LBB18_1225
.LBB18_1300:
	s_cmp_lt_i32 s5, 5
	s_cbranch_scc1 .LBB18_1305
; %bb.1301:
	s_cmp_lt_i32 s5, 8
	s_cbranch_scc1 .LBB18_1306
; %bb.1302:
	;; [unrolled: 3-line block ×3, first 2 shown]
	s_cmp_gt_i32 s5, 9
	s_cbranch_scc0 .LBB18_1308
; %bb.1304:
	global_load_dwordx2 v[4:5], v[1:2], off
	s_mov_b32 s0, 0
	s_waitcnt vmcnt(0)
	v_cvt_f32_f64_e32 v4, v[4:5]
	s_branch .LBB18_1309
.LBB18_1305:
                                        ; implicit-def: $vgpr4
	s_branch .LBB18_1327
.LBB18_1306:
	s_mov_b32 s0, -1
                                        ; implicit-def: $vgpr4
	s_branch .LBB18_1315
.LBB18_1307:
	s_mov_b32 s0, -1
                                        ; implicit-def: $vgpr4
	s_branch .LBB18_1312
.LBB18_1308:
	s_mov_b32 s0, -1
                                        ; implicit-def: $vgpr4
.LBB18_1309:
	s_andn2_b32 vcc_lo, exec_lo, s0
	s_cbranch_vccnz .LBB18_1311
; %bb.1310:
	global_load_dword v4, v[1:2], off
.LBB18_1311:
	s_mov_b32 s0, 0
.LBB18_1312:
	s_andn2_b32 vcc_lo, exec_lo, s0
	s_cbranch_vccnz .LBB18_1314
; %bb.1313:
	global_load_dword v4, v[1:2], off
	s_waitcnt vmcnt(0)
	v_cvt_f32_f16_e32 v4, v4
.LBB18_1314:
	s_mov_b32 s0, 0
.LBB18_1315:
	s_andn2_b32 vcc_lo, exec_lo, s0
	s_cbranch_vccnz .LBB18_1326
; %bb.1316:
	s_cmp_lt_i32 s5, 6
	s_cbranch_scc1 .LBB18_1319
; %bb.1317:
	s_cmp_gt_i32 s5, 6
	s_cbranch_scc0 .LBB18_1320
; %bb.1318:
	global_load_dwordx2 v[4:5], v[1:2], off
	s_mov_b32 s0, 0
	s_waitcnt vmcnt(0)
	v_cvt_f32_f64_e32 v4, v[4:5]
	s_branch .LBB18_1321
.LBB18_1319:
	s_mov_b32 s0, -1
                                        ; implicit-def: $vgpr4
	s_branch .LBB18_1324
.LBB18_1320:
	s_mov_b32 s0, -1
                                        ; implicit-def: $vgpr4
.LBB18_1321:
	s_andn2_b32 vcc_lo, exec_lo, s0
	s_cbranch_vccnz .LBB18_1323
; %bb.1322:
	global_load_dword v4, v[1:2], off
.LBB18_1323:
	s_mov_b32 s0, 0
.LBB18_1324:
	s_andn2_b32 vcc_lo, exec_lo, s0
	s_cbranch_vccnz .LBB18_1326
; %bb.1325:
	global_load_ushort v4, v[1:2], off
	s_waitcnt vmcnt(0)
	v_cvt_f32_f16_e32 v4, v4
.LBB18_1326:
	s_cbranch_execnz .LBB18_1346
.LBB18_1327:
	s_cmp_lt_i32 s5, 2
	s_cbranch_scc1 .LBB18_1331
; %bb.1328:
	s_cmp_lt_i32 s5, 3
	s_cbranch_scc1 .LBB18_1332
; %bb.1329:
	s_cmp_gt_i32 s5, 3
	s_cbranch_scc0 .LBB18_1333
; %bb.1330:
	global_load_dwordx2 v[4:5], v[1:2], off
	s_mov_b32 s0, 0
	s_waitcnt vmcnt(0)
	v_xor_b32_e32 v6, v4, v5
	v_ffbh_i32_e32 v8, v5
	v_ashrrev_i32_e32 v6, 31, v6
	v_add_nc_u32_e32 v8, -1, v8
	v_add_nc_u32_e32 v6, 32, v6
	v_min_u32_e32 v6, v8, v6
	v_lshlrev_b64 v[4:5], v6, v[4:5]
	v_min_u32_e32 v4, 1, v4
	v_or_b32_e32 v4, v5, v4
	v_sub_nc_u32_e32 v5, 32, v6
	v_cvt_f32_i32_e32 v4, v4
	v_ldexp_f32 v4, v4, v5
	s_branch .LBB18_1334
.LBB18_1331:
	s_mov_b32 s0, -1
                                        ; implicit-def: $vgpr4
	s_branch .LBB18_1340
.LBB18_1332:
	s_mov_b32 s0, -1
                                        ; implicit-def: $vgpr4
	s_branch .LBB18_1337
.LBB18_1333:
	s_mov_b32 s0, -1
                                        ; implicit-def: $vgpr4
.LBB18_1334:
	s_andn2_b32 vcc_lo, exec_lo, s0
	s_cbranch_vccnz .LBB18_1336
; %bb.1335:
	global_load_dword v4, v[1:2], off
	s_waitcnt vmcnt(0)
	v_cvt_f32_i32_e32 v4, v4
.LBB18_1336:
	s_mov_b32 s0, 0
.LBB18_1337:
	s_andn2_b32 vcc_lo, exec_lo, s0
	s_cbranch_vccnz .LBB18_1339
; %bb.1338:
	global_load_sshort v4, v[1:2], off
	s_waitcnt vmcnt(0)
	v_cvt_f32_i32_e32 v4, v4
.LBB18_1339:
	s_mov_b32 s0, 0
.LBB18_1340:
	s_andn2_b32 vcc_lo, exec_lo, s0
	s_cbranch_vccnz .LBB18_1346
; %bb.1341:
	s_cmp_gt_i32 s5, 0
	s_mov_b32 s0, 0
	s_cbranch_scc0 .LBB18_1343
; %bb.1342:
	global_load_sbyte v4, v[1:2], off
	s_waitcnt vmcnt(0)
	v_cvt_f32_i32_e32 v4, v4
	s_branch .LBB18_1344
.LBB18_1343:
	s_mov_b32 s0, -1
                                        ; implicit-def: $vgpr4
.LBB18_1344:
	s_andn2_b32 vcc_lo, exec_lo, s0
	s_cbranch_vccnz .LBB18_1346
; %bb.1345:
	global_load_ubyte v1, v[1:2], off
	s_waitcnt vmcnt(0)
	v_cvt_f32_ubyte0_e32 v4, v1
.LBB18_1346:
.LBB18_1347:
	s_waitcnt vmcnt(0)
	v_mul_f32_e64 v1, 0x3fb8aa3b, |v4|
	s_mov_b32 s12, exec_lo
                                        ; implicit-def: $vgpr2
	v_cmpx_ge_f32_e64 0x41000000, |v4|
	s_xor_b32 s12, exec_lo, s12
	s_cbranch_execz .LBB18_1353
; %bb.1348:
	v_fma_f32 v2, |v4|, 0.5, -2.0
	s_mov_b32 s0, 0x224cf950
	v_rndne_f32_e32 v8, v1
	v_fma_f32 v9, 0x3fb8aa3b, |v4|, -v1
	v_cmp_ngt_f32_e64 vcc_lo, 0xc2ce8ed0, |v4|
	v_fmaak_f32 v5, s0, v2, 0xa3c2be86
	v_cmp_nlt_f32_e64 s0, 0x42b17218, |v4|
	v_sub_f32_e32 v1, v1, v8
	v_fma_f32 v9, 0x32a5705f, |v4|, v9
	v_fmaak_f32 v6, v2, v5, 0xa24cf950
	v_add_f32_e32 v1, v1, v9
	v_add_f32_e32 v6, 0x25331f1f, v6
	v_exp_f32_e32 v1, v1
	v_fma_f32 v5, v2, v6, -v5
	v_add_f32_e32 v5, 0xa69f5554, v5
	v_fma_f32 v6, v2, v5, -v6
	v_add_f32_e32 v6, 0x2808ebf8, v6
	;; [unrolled: 2-line block ×25, first 2 shown]
	v_fma_f32 v2, v2, v5, -v6
	v_cvt_i32_f32_e32 v5, v8
	v_add_f32_e32 v2, 0x3e81531c, v2
	v_ldexp_f32 v1, v1, v5
	v_sub_f32_e32 v2, v2, v6
	v_cndmask_b32_e32 v5, 0, v1, vcc_lo
	v_cmp_ngt_f32_e32 vcc_lo, 0, v4
	v_mul_f32_e32 v2, 0.5, v2
	v_mul_f32_e64 v1, |v4|, v2
	v_cndmask_b32_e64 v4, 0x7f800000, v5, s0
                                        ; implicit-def: $vgpr2
	s_and_saveexec_b32 s0, vcc_lo
	s_xor_b32 s0, exec_lo, s0
; %bb.1349:
	v_mul_f32_e32 v2, v4, v1
                                        ; implicit-def: $vgpr4
                                        ; implicit-def: $vgpr1
; %bb.1350:
	s_andn2_saveexec_b32 s0, s0
; %bb.1351:
	v_mul_f32_e64 v2, v1, -v4
; %bb.1352:
	s_or_b32 exec_lo, exec_lo, s0
                                        ; implicit-def: $vgpr4
                                        ; implicit-def: $vgpr1
.LBB18_1353:
	s_andn2_saveexec_b32 s12, s12
	s_cbranch_execz .LBB18_1359
; %bb.1354:
	v_and_b32_e32 v2, 0x7fffffff, v4
	s_mov_b32 s0, 0x230aab6e
	v_div_scale_f32 v5, null, v2, v2, 0x42000000
	v_div_scale_f32 v2, vcc_lo, 0x42000000, v2, 0x42000000
	v_rcp_f32_e32 v6, v5
	v_fma_f32 v8, -v5, v6, 1.0
	v_fmac_f32_e32 v6, v8, v6
	v_mul_f32_e32 v8, v2, v6
	v_fma_f32 v9, -v5, v8, v2
	v_fmac_f32_e32 v8, v9, v6
	v_fma_f32 v9, 0x3fb8aa3b, |v4|, -v1
	v_fma_f32 v2, -v5, v8, v2
	v_fma_f32 v9, 0x32a5705f, |v4|, v9
	v_div_fmas_f32 v2, v2, v6, v8
	v_rndne_f32_e32 v8, v1
	v_cmp_ngt_f32_e64 vcc_lo, 0xc2ce8ed0, |v4|
	v_div_fixup_f32 v2, v2, |v4|, 0x42000000
	v_sub_f32_e32 v1, v1, v8
	v_cvt_i32_f32_e32 v8, v8
	v_add_f32_e32 v2, -2.0, v2
	v_add_f32_e32 v1, v1, v9
	v_fmaak_f32 v5, s0, v2, 0x22a2dc57
	v_exp_f32_e32 v1, v1
	v_cmp_nlt_f32_e64 s0, 0x42b17218, |v4|
	v_fmaak_f32 v6, v2, v5, 0xa30aab6e
	v_add_f32_e32 v6, 0xa456751e, v6
	v_ldexp_f32 v1, v1, v8
	v_fma_f32 v5, v2, v6, -v5
	v_cndmask_b32_e32 v1, 0, v1, vcc_lo
	v_add_f32_e32 v5, 0xa4140365, v5
	v_cndmask_b32_e64 v1, 0x7f800000, v1, s0
	s_mov_b32 s0, exec_lo
	v_fma_f32 v6, v2, v5, -v6
	v_add_f32_e32 v6, 0x25aac8b0, v6
	v_fma_f32 v5, v2, v6, -v5
	v_add_f32_e32 v5, 0x25beb473, v5
	;; [unrolled: 2-line block ×21, first 2 shown]
	v_sub_f32_e32 v5, v2, v6
	v_mul_f32_e64 v6, 0x4f800000, |v4|
                                        ; implicit-def: $vgpr2
	v_cmpx_ngt_f32_e32 0, v4
	s_xor_b32 s13, exec_lo, s0
	s_cbranch_execz .LBB18_1356
; %bb.1355:
	v_cmp_gt_f32_e64 vcc_lo, 0xf800000, |v4|
	v_mul_f32_e32 v5, 0.5, v5
	v_cndmask_b32_e64 v2, |v4|, v6, vcc_lo
	v_mul_f32_e32 v1, v1, v5
	v_sqrt_f32_e32 v4, v2
	v_add_nc_u32_e32 v6, -1, v4
	v_add_nc_u32_e32 v8, 1, v4
	v_fma_f32 v9, -v6, v4, v2
	v_fma_f32 v10, -v8, v4, v2
	v_cmp_ge_f32_e64 s0, 0, v9
	v_cndmask_b32_e64 v4, v4, v6, s0
	v_cmp_lt_f32_e64 s0, 0, v10
	v_cndmask_b32_e64 v4, v4, v8, s0
	v_mul_f32_e32 v6, 0x37800000, v4
	v_cndmask_b32_e32 v4, v4, v6, vcc_lo
	v_cmp_class_f32_e64 vcc_lo, v2, 0x260
	v_cndmask_b32_e32 v2, v4, v2, vcc_lo
	v_div_scale_f32 v4, null, v2, v2, v1
	v_rcp_f32_e32 v5, v4
	v_fma_f32 v6, -v4, v5, 1.0
	v_fmac_f32_e32 v5, v6, v5
	v_div_scale_f32 v6, vcc_lo, v1, v2, v1
	v_mul_f32_e32 v8, v6, v5
	v_fma_f32 v9, -v4, v8, v6
	v_fmac_f32_e32 v8, v9, v5
	v_fma_f32 v4, -v4, v8, v6
                                        ; implicit-def: $vgpr6
	v_div_fmas_f32 v4, v4, v5, v8
                                        ; implicit-def: $vgpr5
	v_div_fixup_f32 v2, v4, v2, v1
                                        ; implicit-def: $vgpr4
                                        ; implicit-def: $vgpr1
.LBB18_1356:
	s_andn2_saveexec_b32 s13, s13
	s_cbranch_execz .LBB18_1358
; %bb.1357:
	v_cmp_gt_f32_e64 vcc_lo, 0xf800000, |v4|
	v_mul_f32_e32 v5, -0.5, v5
	v_cndmask_b32_e64 v2, |v4|, v6, vcc_lo
	v_mul_f32_e32 v1, v1, v5
	v_sqrt_f32_e32 v4, v2
	v_add_nc_u32_e32 v6, -1, v4
	v_add_nc_u32_e32 v8, 1, v4
	v_fma_f32 v9, -v6, v4, v2
	v_fma_f32 v10, -v8, v4, v2
	v_cmp_ge_f32_e64 s0, 0, v9
	v_cndmask_b32_e64 v4, v4, v6, s0
	v_cmp_lt_f32_e64 s0, 0, v10
	v_cndmask_b32_e64 v4, v4, v8, s0
	v_mul_f32_e32 v6, 0x37800000, v4
	v_cndmask_b32_e32 v4, v4, v6, vcc_lo
	v_cmp_class_f32_e64 vcc_lo, v2, 0x260
	v_cndmask_b32_e32 v2, v4, v2, vcc_lo
	v_div_scale_f32 v4, null, v2, v2, v1
	v_rcp_f32_e32 v5, v4
	v_fma_f32 v6, -v4, v5, 1.0
	v_fmac_f32_e32 v5, v6, v5
	v_div_scale_f32 v6, vcc_lo, v1, v2, v1
	v_mul_f32_e32 v8, v6, v5
	v_fma_f32 v9, -v4, v8, v6
	v_fmac_f32_e32 v8, v9, v5
	v_fma_f32 v4, -v4, v8, v6
	v_div_fmas_f32 v4, v4, v5, v8
	v_div_fixup_f32 v2, v4, v2, v1
.LBB18_1358:
	s_or_b32 exec_lo, exec_lo, s13
.LBB18_1359:
	s_or_b32 exec_lo, exec_lo, s12
	v_add_nc_u32_e32 v1, s3, v3
	s_cmp_lt_i32 s5, 11
	v_ashrrev_i32_e32 v4, 31, v1
	v_add_co_u32 v3, vcc_lo, s10, v1
	v_add_co_ci_u32_e64 v4, null, s11, v4, vcc_lo
	s_cbranch_scc1 .LBB18_1366
; %bb.1360:
	s_cmp_gt_i32 s5, 25
	s_mov_b32 s12, 0
	s_cbranch_scc0 .LBB18_1368
; %bb.1361:
	s_cmp_gt_i32 s5, 28
	s_cbranch_scc0 .LBB18_1369
; %bb.1362:
	s_cmp_gt_i32 s5, 43
	;; [unrolled: 3-line block ×3, first 2 shown]
	s_cbranch_scc0 .LBB18_1372
; %bb.1364:
	s_cmp_eq_u32 s5, 46
	s_mov_b32 s14, 0
	s_cbranch_scc0 .LBB18_1373
; %bb.1365:
	global_load_dword v5, v[3:4], off
	s_mov_b32 s0, 0
	s_mov_b32 s13, -1
	s_waitcnt vmcnt(0)
	v_lshlrev_b32_e32 v5, 16, v5
	s_branch .LBB18_1375
.LBB18_1366:
	s_mov_b32 s13, 0
                                        ; implicit-def: $vgpr5
	s_cbranch_execnz .LBB18_1441
.LBB18_1367:
	s_andn2_b32 vcc_lo, exec_lo, s13
	s_cbranch_vccnz .LBB18_1722
	s_branch .LBB18_1489
.LBB18_1368:
	s_mov_b32 s14, -1
	s_mov_b32 s13, 0
	s_mov_b32 s0, 0
                                        ; implicit-def: $vgpr5
	s_branch .LBB18_1404
.LBB18_1369:
	s_mov_b32 s14, -1
	s_mov_b32 s13, 0
	s_mov_b32 s0, 0
                                        ; implicit-def: $vgpr5
	s_branch .LBB18_1385
.LBB18_1370:
	s_mov_b32 s14, -1
	s_mov_b32 s13, 0
	s_mov_b32 s0, 0
                                        ; implicit-def: $vgpr5
	s_branch .LBB18_1380
.LBB18_1371:
	s_or_b32 s4, s4, exec_lo
	s_trap 2
	s_cbranch_execz .LBB18_1298
	s_branch .LBB18_1299
.LBB18_1372:
	s_mov_b32 s14, -1
	s_mov_b32 s13, 0
	s_mov_b32 s0, 0
	s_branch .LBB18_1374
.LBB18_1373:
	s_mov_b32 s0, -1
	s_mov_b32 s13, 0
.LBB18_1374:
                                        ; implicit-def: $vgpr5
.LBB18_1375:
	s_and_b32 vcc_lo, exec_lo, s14
	s_cbranch_vccz .LBB18_1379
; %bb.1376:
	s_cmp_eq_u32 s5, 44
	s_cbranch_scc0 .LBB18_1378
; %bb.1377:
	global_load_ubyte v5, v[3:4], off
	s_mov_b32 s0, 0
	s_mov_b32 s13, -1
	s_waitcnt vmcnt(0)
	v_lshlrev_b32_e32 v6, 23, v5
	v_cmp_ne_u32_e32 vcc_lo, 0xff, v5
	v_cndmask_b32_e32 v6, 0x7f800001, v6, vcc_lo
	v_cmp_ne_u32_e32 vcc_lo, 0, v5
	v_cndmask_b32_e32 v5, 0x400000, v6, vcc_lo
	s_branch .LBB18_1379
.LBB18_1378:
	s_mov_b32 s0, -1
                                        ; implicit-def: $vgpr5
.LBB18_1379:
	s_mov_b32 s14, 0
.LBB18_1380:
	s_and_b32 vcc_lo, exec_lo, s14
	s_cbranch_vccz .LBB18_1384
; %bb.1381:
	s_cmp_eq_u32 s5, 29
	s_cbranch_scc0 .LBB18_1383
; %bb.1382:
	global_load_dwordx2 v[5:6], v[3:4], off
	s_mov_b32 s0, 0
	s_mov_b32 s13, -1
	s_mov_b32 s14, 0
	s_waitcnt vmcnt(0)
	v_ffbh_u32_e32 v8, v6
	v_min_u32_e32 v8, 32, v8
	v_lshlrev_b64 v[5:6], v8, v[5:6]
	v_min_u32_e32 v5, 1, v5
	v_or_b32_e32 v5, v6, v5
	v_sub_nc_u32_e32 v6, 32, v8
	v_cvt_f32_u32_e32 v5, v5
	v_ldexp_f32 v5, v5, v6
	s_branch .LBB18_1385
.LBB18_1383:
	s_mov_b32 s0, -1
                                        ; implicit-def: $vgpr5
.LBB18_1384:
	s_mov_b32 s14, 0
.LBB18_1385:
	s_and_b32 vcc_lo, exec_lo, s14
	s_cbranch_vccz .LBB18_1403
; %bb.1386:
	s_cmp_lt_i32 s5, 27
	s_cbranch_scc1 .LBB18_1389
; %bb.1387:
	s_cmp_gt_i32 s5, 27
	s_cbranch_scc0 .LBB18_1390
; %bb.1388:
	global_load_dword v5, v[3:4], off
	s_mov_b32 s13, 0
	s_waitcnt vmcnt(0)
	v_cvt_f32_u32_e32 v5, v5
	s_branch .LBB18_1391
.LBB18_1389:
	s_mov_b32 s13, -1
                                        ; implicit-def: $vgpr5
	s_branch .LBB18_1394
.LBB18_1390:
	s_mov_b32 s13, -1
                                        ; implicit-def: $vgpr5
.LBB18_1391:
	s_andn2_b32 vcc_lo, exec_lo, s13
	s_cbranch_vccnz .LBB18_1393
; %bb.1392:
	global_load_ushort v5, v[3:4], off
	s_waitcnt vmcnt(0)
	v_cvt_f32_u32_e32 v5, v5
.LBB18_1393:
	s_mov_b32 s13, 0
.LBB18_1394:
	s_andn2_b32 vcc_lo, exec_lo, s13
	s_cbranch_vccnz .LBB18_1402
; %bb.1395:
	global_load_ubyte v6, v[3:4], off
	s_mov_b32 s13, 0
	s_mov_b32 s14, exec_lo
	s_waitcnt vmcnt(0)
	v_cmpx_lt_i16_e32 0x7f, v6
	s_xor_b32 s14, exec_lo, s14
	s_cbranch_execz .LBB18_1416
; %bb.1396:
	s_mov_b32 s13, -1
	s_mov_b32 s15, exec_lo
	v_cmpx_eq_u16_e32 0x80, v6
; %bb.1397:
	s_xor_b32 s13, exec_lo, -1
; %bb.1398:
	s_or_b32 exec_lo, exec_lo, s15
	s_and_b32 s13, s13, exec_lo
	s_or_saveexec_b32 s14, s14
	v_mov_b32_e32 v5, 0x7f800001
	s_xor_b32 exec_lo, exec_lo, s14
	s_cbranch_execnz .LBB18_1417
.LBB18_1399:
	s_or_b32 exec_lo, exec_lo, s14
	s_and_saveexec_b32 s14, s13
	s_cbranch_execz .LBB18_1401
.LBB18_1400:
	v_and_b32_e32 v5, 0xffff, v6
	v_lshlrev_b32_e32 v6, 24, v6
	v_and_b32_e32 v8, 7, v5
	v_bfe_u32 v11, v5, 3, 4
	v_and_b32_e32 v6, 0x80000000, v6
	v_ffbh_u32_e32 v9, v8
	v_cmp_eq_u32_e32 vcc_lo, 0, v11
	v_min_u32_e32 v9, 32, v9
	v_subrev_nc_u32_e32 v10, 28, v9
	v_sub_nc_u32_e32 v9, 29, v9
	v_lshlrev_b32_e32 v5, v10, v5
	v_cndmask_b32_e32 v9, v11, v9, vcc_lo
	v_and_b32_e32 v5, 7, v5
	v_cndmask_b32_e32 v5, v8, v5, vcc_lo
	v_lshl_add_u32 v8, v9, 23, 0x3b800000
	v_lshlrev_b32_e32 v5, 20, v5
	v_or3_b32 v5, v6, v8, v5
.LBB18_1401:
	s_or_b32 exec_lo, exec_lo, s14
.LBB18_1402:
	s_mov_b32 s13, -1
.LBB18_1403:
	s_mov_b32 s14, 0
.LBB18_1404:
	s_and_b32 vcc_lo, exec_lo, s14
	s_cbranch_vccz .LBB18_1437
; %bb.1405:
	s_cmp_gt_i32 s5, 22
	s_cbranch_scc0 .LBB18_1415
; %bb.1406:
	s_cmp_lt_i32 s5, 24
	s_cbranch_scc1 .LBB18_1418
; %bb.1407:
	s_cmp_gt_i32 s5, 24
	s_cbranch_scc0 .LBB18_1419
; %bb.1408:
	global_load_ubyte v6, v[3:4], off
	s_mov_b32 s13, exec_lo
	s_waitcnt vmcnt(0)
	v_cmpx_lt_i16_e32 0x7f, v6
	s_xor_b32 s13, exec_lo, s13
	s_cbranch_execz .LBB18_1431
; %bb.1409:
	s_mov_b32 s12, -1
	s_mov_b32 s14, exec_lo
	v_cmpx_eq_u16_e32 0x80, v6
; %bb.1410:
	s_xor_b32 s12, exec_lo, -1
; %bb.1411:
	s_or_b32 exec_lo, exec_lo, s14
	s_and_b32 s12, s12, exec_lo
	s_or_saveexec_b32 s13, s13
	v_mov_b32_e32 v5, 0x7f800001
	s_xor_b32 exec_lo, exec_lo, s13
	s_cbranch_execnz .LBB18_1432
.LBB18_1412:
	s_or_b32 exec_lo, exec_lo, s13
	s_and_saveexec_b32 s13, s12
	s_cbranch_execz .LBB18_1414
.LBB18_1413:
	v_and_b32_e32 v5, 0xffff, v6
	v_lshlrev_b32_e32 v6, 24, v6
	v_and_b32_e32 v8, 3, v5
	v_bfe_u32 v11, v5, 2, 5
	v_and_b32_e32 v6, 0x80000000, v6
	v_ffbh_u32_e32 v9, v8
	v_cmp_eq_u32_e32 vcc_lo, 0, v11
	v_min_u32_e32 v9, 32, v9
	v_subrev_nc_u32_e32 v10, 29, v9
	v_sub_nc_u32_e32 v9, 30, v9
	v_lshlrev_b32_e32 v5, v10, v5
	v_cndmask_b32_e32 v9, v11, v9, vcc_lo
	v_and_b32_e32 v5, 3, v5
	v_cndmask_b32_e32 v5, v8, v5, vcc_lo
	v_lshl_add_u32 v8, v9, 23, 0x37800000
	v_lshlrev_b32_e32 v5, 21, v5
	v_or3_b32 v5, v6, v8, v5
.LBB18_1414:
	s_or_b32 exec_lo, exec_lo, s13
	s_mov_b32 s12, 0
	s_branch .LBB18_1420
.LBB18_1415:
	s_mov_b32 s12, -1
                                        ; implicit-def: $vgpr5
	s_branch .LBB18_1426
.LBB18_1416:
	s_or_saveexec_b32 s14, s14
	v_mov_b32_e32 v5, 0x7f800001
	s_xor_b32 exec_lo, exec_lo, s14
	s_cbranch_execz .LBB18_1399
.LBB18_1417:
	v_cmp_ne_u16_e32 vcc_lo, 0, v6
	v_mov_b32_e32 v5, 0
	s_andn2_b32 s13, s13, exec_lo
	s_and_b32 s15, vcc_lo, exec_lo
	s_or_b32 s13, s13, s15
	s_or_b32 exec_lo, exec_lo, s14
	s_and_saveexec_b32 s14, s13
	s_cbranch_execnz .LBB18_1400
	s_branch .LBB18_1401
.LBB18_1418:
	s_mov_b32 s12, -1
                                        ; implicit-def: $vgpr5
	s_branch .LBB18_1423
.LBB18_1419:
	s_mov_b32 s12, -1
                                        ; implicit-def: $vgpr5
.LBB18_1420:
	s_and_b32 vcc_lo, exec_lo, s12
	s_cbranch_vccz .LBB18_1422
; %bb.1421:
	global_load_ubyte v5, v[3:4], off
	s_waitcnt vmcnt(0)
	v_lshlrev_b32_e32 v5, 24, v5
	v_and_b32_e32 v6, 0x7f000000, v5
	v_ffbh_u32_e32 v8, v6
	v_add_nc_u32_e32 v10, 0x1000000, v6
	v_cmp_ne_u32_e32 vcc_lo, 0, v6
	v_min_u32_e32 v8, 32, v8
	v_sub_nc_u32_e64 v8, v8, 4 clamp
	v_lshlrev_b32_e32 v9, v8, v6
	v_lshlrev_b32_e32 v8, 23, v8
	v_lshrrev_b32_e32 v9, 4, v9
	v_sub_nc_u32_e32 v8, v9, v8
	v_ashrrev_i32_e32 v9, 8, v10
	v_add_nc_u32_e32 v8, 0x3c000000, v8
	v_and_or_b32 v8, 0x7f800000, v9, v8
	v_cndmask_b32_e32 v6, 0, v8, vcc_lo
	v_and_or_b32 v5, 0x80000000, v5, v6
.LBB18_1422:
	s_mov_b32 s12, 0
.LBB18_1423:
	s_andn2_b32 vcc_lo, exec_lo, s12
	s_cbranch_vccnz .LBB18_1425
; %bb.1424:
	global_load_ubyte v5, v[3:4], off
	s_waitcnt vmcnt(0)
	v_lshlrev_b32_e32 v6, 25, v5
	v_lshlrev_b16 v5, 8, v5
	v_lshrrev_b32_e32 v8, 4, v6
	v_and_or_b32 v9, 0x7f00, v5, 0.5
	v_cmp_gt_u32_e32 vcc_lo, 0x8000000, v6
	v_bfe_i32 v5, v5, 0, 16
	v_or_b32_e32 v8, 0x70000000, v8
	v_add_f32_e32 v9, -0.5, v9
	v_mul_f32_e32 v8, 0x7800000, v8
	v_cndmask_b32_e32 v6, v8, v9, vcc_lo
	v_and_or_b32 v5, 0x80000000, v5, v6
.LBB18_1425:
	s_mov_b32 s12, 0
	s_mov_b32 s13, -1
.LBB18_1426:
	s_andn2_b32 vcc_lo, exec_lo, s12
	s_mov_b32 s12, 0
	s_cbranch_vccnz .LBB18_1437
; %bb.1427:
	s_cmp_gt_i32 s5, 14
	s_cbranch_scc0 .LBB18_1430
; %bb.1428:
	s_cmp_eq_u32 s5, 15
	s_cbranch_scc0 .LBB18_1433
; %bb.1429:
	global_load_ushort v5, v[3:4], off
	s_mov_b32 s0, 0
	s_mov_b32 s13, -1
	s_waitcnt vmcnt(0)
	v_lshlrev_b32_e32 v5, 16, v5
	s_branch .LBB18_1435
.LBB18_1430:
	s_mov_b32 s12, -1
	s_branch .LBB18_1434
.LBB18_1431:
	s_or_saveexec_b32 s13, s13
	v_mov_b32_e32 v5, 0x7f800001
	s_xor_b32 exec_lo, exec_lo, s13
	s_cbranch_execz .LBB18_1412
.LBB18_1432:
	v_cmp_ne_u16_e32 vcc_lo, 0, v6
	v_mov_b32_e32 v5, 0
	s_andn2_b32 s12, s12, exec_lo
	s_and_b32 s14, vcc_lo, exec_lo
	s_or_b32 s12, s12, s14
	s_or_b32 exec_lo, exec_lo, s13
	s_and_saveexec_b32 s13, s12
	s_cbranch_execnz .LBB18_1413
	s_branch .LBB18_1414
.LBB18_1433:
	s_mov_b32 s0, -1
.LBB18_1434:
                                        ; implicit-def: $vgpr5
.LBB18_1435:
	s_and_b32 vcc_lo, exec_lo, s12
	s_mov_b32 s12, 0
	s_cbranch_vccz .LBB18_1437
; %bb.1436:
	s_cmp_lg_u32 s5, 11
	s_mov_b32 s12, -1
	s_cselect_b32 s0, -1, 0
.LBB18_1437:
	s_and_b32 vcc_lo, exec_lo, s0
	s_cbranch_vccnz .LBB18_1512
; %bb.1438:
	s_andn2_b32 vcc_lo, exec_lo, s12
	s_cbranch_vccnz .LBB18_1440
.LBB18_1439:
	global_load_ubyte v5, v[3:4], off
	s_mov_b32 s13, -1
	s_waitcnt vmcnt(0)
	v_cmp_ne_u16_e32 vcc_lo, 0, v5
	v_cndmask_b32_e64 v5, 0, 1.0, vcc_lo
.LBB18_1440:
	s_branch .LBB18_1367
.LBB18_1441:
	s_cmp_lt_i32 s5, 5
	s_cbranch_scc1 .LBB18_1446
; %bb.1442:
	s_cmp_lt_i32 s5, 8
	s_cbranch_scc1 .LBB18_1447
; %bb.1443:
	;; [unrolled: 3-line block ×3, first 2 shown]
	s_cmp_gt_i32 s5, 9
	s_cbranch_scc0 .LBB18_1449
; %bb.1445:
	global_load_dwordx2 v[5:6], v[3:4], off
	s_mov_b32 s0, 0
	s_waitcnt vmcnt(0)
	v_cvt_f32_f64_e32 v5, v[5:6]
	s_branch .LBB18_1450
.LBB18_1446:
	s_mov_b32 s0, -1
                                        ; implicit-def: $vgpr5
	s_branch .LBB18_1468
.LBB18_1447:
	s_mov_b32 s0, -1
                                        ; implicit-def: $vgpr5
	s_branch .LBB18_1456
.LBB18_1448:
	s_mov_b32 s0, -1
                                        ; implicit-def: $vgpr5
	s_branch .LBB18_1453
.LBB18_1449:
	s_mov_b32 s0, -1
                                        ; implicit-def: $vgpr5
.LBB18_1450:
	s_andn2_b32 vcc_lo, exec_lo, s0
	s_cbranch_vccnz .LBB18_1452
; %bb.1451:
	global_load_dword v5, v[3:4], off
.LBB18_1452:
	s_mov_b32 s0, 0
.LBB18_1453:
	s_andn2_b32 vcc_lo, exec_lo, s0
	s_cbranch_vccnz .LBB18_1455
; %bb.1454:
	global_load_dword v5, v[3:4], off
	s_waitcnt vmcnt(0)
	v_cvt_f32_f16_e32 v5, v5
.LBB18_1455:
	s_mov_b32 s0, 0
.LBB18_1456:
	s_andn2_b32 vcc_lo, exec_lo, s0
	s_cbranch_vccnz .LBB18_1467
; %bb.1457:
	s_cmp_lt_i32 s5, 6
	s_cbranch_scc1 .LBB18_1460
; %bb.1458:
	s_cmp_gt_i32 s5, 6
	s_cbranch_scc0 .LBB18_1461
; %bb.1459:
	global_load_dwordx2 v[5:6], v[3:4], off
	s_mov_b32 s0, 0
	s_waitcnt vmcnt(0)
	v_cvt_f32_f64_e32 v5, v[5:6]
	s_branch .LBB18_1462
.LBB18_1460:
	s_mov_b32 s0, -1
                                        ; implicit-def: $vgpr5
	s_branch .LBB18_1465
.LBB18_1461:
	s_mov_b32 s0, -1
                                        ; implicit-def: $vgpr5
.LBB18_1462:
	s_andn2_b32 vcc_lo, exec_lo, s0
	s_cbranch_vccnz .LBB18_1464
; %bb.1463:
	global_load_dword v5, v[3:4], off
.LBB18_1464:
	s_mov_b32 s0, 0
.LBB18_1465:
	s_andn2_b32 vcc_lo, exec_lo, s0
	s_cbranch_vccnz .LBB18_1467
; %bb.1466:
	global_load_ushort v5, v[3:4], off
	s_waitcnt vmcnt(0)
	v_cvt_f32_f16_e32 v5, v5
.LBB18_1467:
	s_mov_b32 s0, 0
.LBB18_1468:
	s_andn2_b32 vcc_lo, exec_lo, s0
	s_cbranch_vccnz .LBB18_1488
; %bb.1469:
	s_cmp_lt_i32 s5, 2
	s_cbranch_scc1 .LBB18_1473
; %bb.1470:
	s_cmp_lt_i32 s5, 3
	s_cbranch_scc1 .LBB18_1474
; %bb.1471:
	s_cmp_gt_i32 s5, 3
	s_cbranch_scc0 .LBB18_1475
; %bb.1472:
	global_load_dwordx2 v[5:6], v[3:4], off
	s_mov_b32 s0, 0
	s_waitcnt vmcnt(0)
	v_xor_b32_e32 v8, v5, v6
	v_ffbh_i32_e32 v9, v6
	v_ashrrev_i32_e32 v8, 31, v8
	v_add_nc_u32_e32 v9, -1, v9
	v_add_nc_u32_e32 v8, 32, v8
	v_min_u32_e32 v8, v9, v8
	v_lshlrev_b64 v[5:6], v8, v[5:6]
	v_min_u32_e32 v5, 1, v5
	v_or_b32_e32 v5, v6, v5
	v_sub_nc_u32_e32 v6, 32, v8
	v_cvt_f32_i32_e32 v5, v5
	v_ldexp_f32 v5, v5, v6
	s_branch .LBB18_1476
.LBB18_1473:
	s_mov_b32 s0, -1
                                        ; implicit-def: $vgpr5
	s_branch .LBB18_1482
.LBB18_1474:
	s_mov_b32 s0, -1
                                        ; implicit-def: $vgpr5
	s_branch .LBB18_1479
.LBB18_1475:
	s_mov_b32 s0, -1
                                        ; implicit-def: $vgpr5
.LBB18_1476:
	s_andn2_b32 vcc_lo, exec_lo, s0
	s_cbranch_vccnz .LBB18_1478
; %bb.1477:
	global_load_dword v5, v[3:4], off
	s_waitcnt vmcnt(0)
	v_cvt_f32_i32_e32 v5, v5
.LBB18_1478:
	s_mov_b32 s0, 0
.LBB18_1479:
	s_andn2_b32 vcc_lo, exec_lo, s0
	s_cbranch_vccnz .LBB18_1481
; %bb.1480:
	global_load_sshort v5, v[3:4], off
	s_waitcnt vmcnt(0)
	v_cvt_f32_i32_e32 v5, v5
.LBB18_1481:
	s_mov_b32 s0, 0
.LBB18_1482:
	s_andn2_b32 vcc_lo, exec_lo, s0
	s_cbranch_vccnz .LBB18_1488
; %bb.1483:
	s_cmp_gt_i32 s5, 0
	s_mov_b32 s0, 0
	s_cbranch_scc0 .LBB18_1485
; %bb.1484:
	global_load_sbyte v5, v[3:4], off
	s_waitcnt vmcnt(0)
	v_cvt_f32_i32_e32 v5, v5
	s_branch .LBB18_1486
.LBB18_1485:
	s_mov_b32 s0, -1
                                        ; implicit-def: $vgpr5
.LBB18_1486:
	s_andn2_b32 vcc_lo, exec_lo, s0
	s_cbranch_vccnz .LBB18_1488
; %bb.1487:
	global_load_ubyte v3, v[3:4], off
	s_waitcnt vmcnt(0)
	v_cvt_f32_ubyte0_e32 v5, v3
.LBB18_1488:
.LBB18_1489:
	s_waitcnt vmcnt(0)
	v_mul_f32_e64 v3, 0x3fb8aa3b, |v5|
	s_mov_b32 s12, exec_lo
                                        ; implicit-def: $vgpr4
	v_cmpx_ge_f32_e64 0x41000000, |v5|
	s_xor_b32 s12, exec_lo, s12
	s_cbranch_execz .LBB18_1495
; %bb.1490:
	v_fma_f32 v4, |v5|, 0.5, -2.0
	s_mov_b32 s0, 0x224cf950
	v_rndne_f32_e32 v9, v3
	v_fma_f32 v10, 0x3fb8aa3b, |v5|, -v3
	v_cmp_ngt_f32_e64 vcc_lo, 0xc2ce8ed0, |v5|
	v_fmaak_f32 v6, s0, v4, 0xa3c2be86
	v_cmp_nlt_f32_e64 s0, 0x42b17218, |v5|
	v_sub_f32_e32 v3, v3, v9
	v_fma_f32 v10, 0x32a5705f, |v5|, v10
	v_fmaak_f32 v8, v4, v6, 0xa24cf950
	v_add_f32_e32 v3, v3, v10
	v_add_f32_e32 v8, 0x25331f1f, v8
	v_exp_f32_e32 v3, v3
	v_fma_f32 v6, v4, v8, -v6
	v_add_f32_e32 v6, 0xa69f5554, v6
	v_fma_f32 v8, v4, v6, -v8
	v_add_f32_e32 v8, 0x2808ebf8, v8
	;; [unrolled: 2-line block ×25, first 2 shown]
	v_fma_f32 v4, v4, v6, -v8
	v_cvt_i32_f32_e32 v6, v9
	v_add_f32_e32 v4, 0x3e81531c, v4
	v_ldexp_f32 v3, v3, v6
	v_sub_f32_e32 v4, v4, v8
	v_cndmask_b32_e32 v6, 0, v3, vcc_lo
	v_cmp_ngt_f32_e32 vcc_lo, 0, v5
	v_mul_f32_e32 v4, 0.5, v4
	v_mul_f32_e64 v3, |v5|, v4
	v_cndmask_b32_e64 v5, 0x7f800000, v6, s0
                                        ; implicit-def: $vgpr4
	s_and_saveexec_b32 s0, vcc_lo
	s_xor_b32 s0, exec_lo, s0
; %bb.1491:
	v_mul_f32_e32 v4, v5, v3
                                        ; implicit-def: $vgpr5
                                        ; implicit-def: $vgpr3
; %bb.1492:
	s_andn2_saveexec_b32 s0, s0
; %bb.1493:
	v_mul_f32_e64 v4, v3, -v5
; %bb.1494:
	s_or_b32 exec_lo, exec_lo, s0
                                        ; implicit-def: $vgpr5
                                        ; implicit-def: $vgpr3
.LBB18_1495:
	s_andn2_saveexec_b32 s12, s12
	s_cbranch_execz .LBB18_1501
; %bb.1496:
	v_and_b32_e32 v4, 0x7fffffff, v5
	s_mov_b32 s0, 0x230aab6e
	v_div_scale_f32 v6, null, v4, v4, 0x42000000
	v_div_scale_f32 v4, vcc_lo, 0x42000000, v4, 0x42000000
	v_rcp_f32_e32 v8, v6
	v_fma_f32 v9, -v6, v8, 1.0
	v_fmac_f32_e32 v8, v9, v8
	v_mul_f32_e32 v9, v4, v8
	v_fma_f32 v10, -v6, v9, v4
	v_fmac_f32_e32 v9, v10, v8
	v_fma_f32 v10, 0x3fb8aa3b, |v5|, -v3
	v_fma_f32 v4, -v6, v9, v4
	v_fma_f32 v10, 0x32a5705f, |v5|, v10
	v_div_fmas_f32 v4, v4, v8, v9
	v_rndne_f32_e32 v9, v3
	v_cmp_ngt_f32_e64 vcc_lo, 0xc2ce8ed0, |v5|
	v_div_fixup_f32 v4, v4, |v5|, 0x42000000
	v_sub_f32_e32 v3, v3, v9
	v_cvt_i32_f32_e32 v9, v9
	v_add_f32_e32 v4, -2.0, v4
	v_add_f32_e32 v3, v3, v10
	v_fmaak_f32 v6, s0, v4, 0x22a2dc57
	v_exp_f32_e32 v3, v3
	v_cmp_nlt_f32_e64 s0, 0x42b17218, |v5|
	v_fmaak_f32 v8, v4, v6, 0xa30aab6e
	v_add_f32_e32 v8, 0xa456751e, v8
	v_ldexp_f32 v3, v3, v9
	v_fma_f32 v6, v4, v8, -v6
	v_cndmask_b32_e32 v3, 0, v3, vcc_lo
	v_add_f32_e32 v6, 0xa4140365, v6
	v_cndmask_b32_e64 v3, 0x7f800000, v3, s0
	s_mov_b32 s0, exec_lo
	v_fma_f32 v8, v4, v6, -v8
	v_add_f32_e32 v8, 0x25aac8b0, v8
	v_fma_f32 v6, v4, v8, -v6
	v_add_f32_e32 v6, 0x25beb473, v6
	;; [unrolled: 2-line block ×21, first 2 shown]
	v_sub_f32_e32 v6, v4, v8
	v_mul_f32_e64 v8, 0x4f800000, |v5|
                                        ; implicit-def: $vgpr4
	v_cmpx_ngt_f32_e32 0, v5
	s_xor_b32 s13, exec_lo, s0
	s_cbranch_execz .LBB18_1498
; %bb.1497:
	v_cmp_gt_f32_e64 vcc_lo, 0xf800000, |v5|
	v_mul_f32_e32 v6, 0.5, v6
	v_cndmask_b32_e64 v4, |v5|, v8, vcc_lo
	v_mul_f32_e32 v3, v3, v6
	v_sqrt_f32_e32 v5, v4
	v_add_nc_u32_e32 v8, -1, v5
	v_add_nc_u32_e32 v9, 1, v5
	v_fma_f32 v10, -v8, v5, v4
	v_fma_f32 v11, -v9, v5, v4
	v_cmp_ge_f32_e64 s0, 0, v10
	v_cndmask_b32_e64 v5, v5, v8, s0
	v_cmp_lt_f32_e64 s0, 0, v11
	v_cndmask_b32_e64 v5, v5, v9, s0
	v_mul_f32_e32 v8, 0x37800000, v5
	v_cndmask_b32_e32 v5, v5, v8, vcc_lo
	v_cmp_class_f32_e64 vcc_lo, v4, 0x260
	v_cndmask_b32_e32 v4, v5, v4, vcc_lo
	v_div_scale_f32 v5, null, v4, v4, v3
	v_rcp_f32_e32 v6, v5
	v_fma_f32 v8, -v5, v6, 1.0
	v_fmac_f32_e32 v6, v8, v6
	v_div_scale_f32 v8, vcc_lo, v3, v4, v3
	v_mul_f32_e32 v9, v8, v6
	v_fma_f32 v10, -v5, v9, v8
	v_fmac_f32_e32 v9, v10, v6
	v_fma_f32 v5, -v5, v9, v8
                                        ; implicit-def: $vgpr8
	v_div_fmas_f32 v5, v5, v6, v9
                                        ; implicit-def: $vgpr6
	v_div_fixup_f32 v4, v5, v4, v3
                                        ; implicit-def: $vgpr5
                                        ; implicit-def: $vgpr3
.LBB18_1498:
	s_andn2_saveexec_b32 s13, s13
	s_cbranch_execz .LBB18_1500
; %bb.1499:
	v_cmp_gt_f32_e64 vcc_lo, 0xf800000, |v5|
	v_mul_f32_e32 v6, -0.5, v6
	v_cndmask_b32_e64 v4, |v5|, v8, vcc_lo
	v_mul_f32_e32 v3, v3, v6
	v_sqrt_f32_e32 v5, v4
	v_add_nc_u32_e32 v8, -1, v5
	v_add_nc_u32_e32 v9, 1, v5
	v_fma_f32 v10, -v8, v5, v4
	v_fma_f32 v11, -v9, v5, v4
	v_cmp_ge_f32_e64 s0, 0, v10
	v_cndmask_b32_e64 v5, v5, v8, s0
	v_cmp_lt_f32_e64 s0, 0, v11
	v_cndmask_b32_e64 v5, v5, v9, s0
	v_mul_f32_e32 v8, 0x37800000, v5
	v_cndmask_b32_e32 v5, v5, v8, vcc_lo
	v_cmp_class_f32_e64 vcc_lo, v4, 0x260
	v_cndmask_b32_e32 v4, v5, v4, vcc_lo
	v_div_scale_f32 v5, null, v4, v4, v3
	v_rcp_f32_e32 v6, v5
	v_fma_f32 v8, -v5, v6, 1.0
	v_fmac_f32_e32 v6, v8, v6
	v_div_scale_f32 v8, vcc_lo, v3, v4, v3
	v_mul_f32_e32 v9, v8, v6
	v_fma_f32 v10, -v5, v9, v8
	v_fmac_f32_e32 v9, v10, v6
	v_fma_f32 v5, -v5, v9, v8
	v_div_fmas_f32 v5, v5, v6, v9
	v_div_fixup_f32 v4, v5, v4, v3
.LBB18_1500:
	s_or_b32 exec_lo, exec_lo, s13
.LBB18_1501:
	s_or_b32 exec_lo, exec_lo, s12
	v_add_nc_u32_e32 v1, s3, v1
	s_cmp_lt_i32 s5, 11
	v_ashrrev_i32_e32 v3, 31, v1
	v_add_co_u32 v5, vcc_lo, s10, v1
	v_add_co_ci_u32_e64 v6, null, s11, v3, vcc_lo
	s_cbranch_scc1 .LBB18_1508
; %bb.1502:
	s_cmp_gt_i32 s5, 25
	s_mov_b32 s3, 0
	s_cbranch_scc0 .LBB18_1509
; %bb.1503:
	s_cmp_gt_i32 s5, 28
	s_cbranch_scc0 .LBB18_1510
; %bb.1504:
	s_cmp_gt_i32 s5, 43
	;; [unrolled: 3-line block ×3, first 2 shown]
	s_cbranch_scc0 .LBB18_1513
; %bb.1506:
	s_cmp_eq_u32 s5, 46
	s_mov_b32 s11, 0
	s_cbranch_scc0 .LBB18_1514
; %bb.1507:
	global_load_dword v1, v[5:6], off
	s_mov_b32 s0, 0
	s_mov_b32 s10, -1
	s_waitcnt vmcnt(0)
	v_lshlrev_b32_e32 v1, 16, v1
	s_branch .LBB18_1516
.LBB18_1508:
	s_mov_b32 s0, -1
	s_mov_b32 s10, 0
                                        ; implicit-def: $vgpr1
	s_branch .LBB18_1582
.LBB18_1509:
	s_mov_b32 s11, -1
	s_mov_b32 s10, 0
	s_mov_b32 s0, 0
                                        ; implicit-def: $vgpr1
	s_branch .LBB18_1545
.LBB18_1510:
	s_mov_b32 s11, -1
	s_mov_b32 s10, 0
	s_mov_b32 s0, 0
                                        ; implicit-def: $vgpr1
	s_branch .LBB18_1526
.LBB18_1511:
	s_mov_b32 s11, -1
	s_mov_b32 s10, 0
	s_mov_b32 s0, 0
                                        ; implicit-def: $vgpr1
	s_branch .LBB18_1521
.LBB18_1512:
	s_or_b32 s4, s4, exec_lo
	s_trap 2
	s_cbranch_execz .LBB18_1439
	s_branch .LBB18_1440
.LBB18_1513:
	s_mov_b32 s11, -1
	s_mov_b32 s10, 0
	s_mov_b32 s0, 0
	s_branch .LBB18_1515
.LBB18_1514:
	s_mov_b32 s0, -1
	s_mov_b32 s10, 0
.LBB18_1515:
                                        ; implicit-def: $vgpr1
.LBB18_1516:
	s_and_b32 vcc_lo, exec_lo, s11
	s_cbranch_vccz .LBB18_1520
; %bb.1517:
	s_cmp_eq_u32 s5, 44
	s_cbranch_scc0 .LBB18_1519
; %bb.1518:
	global_load_ubyte v1, v[5:6], off
	s_mov_b32 s0, 0
	s_mov_b32 s10, -1
	s_waitcnt vmcnt(0)
	v_lshlrev_b32_e32 v3, 23, v1
	v_cmp_ne_u32_e32 vcc_lo, 0xff, v1
	v_cndmask_b32_e32 v3, 0x7f800001, v3, vcc_lo
	v_cmp_ne_u32_e32 vcc_lo, 0, v1
	v_cndmask_b32_e32 v1, 0x400000, v3, vcc_lo
	s_branch .LBB18_1520
.LBB18_1519:
	s_mov_b32 s0, -1
                                        ; implicit-def: $vgpr1
.LBB18_1520:
	s_mov_b32 s11, 0
.LBB18_1521:
	s_and_b32 vcc_lo, exec_lo, s11
	s_cbranch_vccz .LBB18_1525
; %bb.1522:
	s_cmp_eq_u32 s5, 29
	s_cbranch_scc0 .LBB18_1524
; %bb.1523:
	global_load_dwordx2 v[8:9], v[5:6], off
	s_mov_b32 s0, 0
	s_mov_b32 s10, -1
	s_mov_b32 s11, 0
	s_waitcnt vmcnt(0)
	v_ffbh_u32_e32 v1, v9
	v_min_u32_e32 v1, 32, v1
	v_lshlrev_b64 v[8:9], v1, v[8:9]
	v_sub_nc_u32_e32 v1, 32, v1
	v_min_u32_e32 v3, 1, v8
	v_or_b32_e32 v3, v9, v3
	v_cvt_f32_u32_e32 v3, v3
	v_ldexp_f32 v1, v3, v1
	s_branch .LBB18_1526
.LBB18_1524:
	s_mov_b32 s0, -1
                                        ; implicit-def: $vgpr1
.LBB18_1525:
	s_mov_b32 s11, 0
.LBB18_1526:
	s_and_b32 vcc_lo, exec_lo, s11
	s_cbranch_vccz .LBB18_1544
; %bb.1527:
	s_cmp_lt_i32 s5, 27
	s_cbranch_scc1 .LBB18_1530
; %bb.1528:
	s_cmp_gt_i32 s5, 27
	s_cbranch_scc0 .LBB18_1531
; %bb.1529:
	global_load_dword v1, v[5:6], off
	s_mov_b32 s10, 0
	s_waitcnt vmcnt(0)
	v_cvt_f32_u32_e32 v1, v1
	s_branch .LBB18_1532
.LBB18_1530:
	s_mov_b32 s10, -1
                                        ; implicit-def: $vgpr1
	s_branch .LBB18_1535
.LBB18_1531:
	s_mov_b32 s10, -1
                                        ; implicit-def: $vgpr1
.LBB18_1532:
	s_andn2_b32 vcc_lo, exec_lo, s10
	s_cbranch_vccnz .LBB18_1534
; %bb.1533:
	global_load_ushort v1, v[5:6], off
	s_waitcnt vmcnt(0)
	v_cvt_f32_u32_e32 v1, v1
.LBB18_1534:
	s_mov_b32 s10, 0
.LBB18_1535:
	s_andn2_b32 vcc_lo, exec_lo, s10
	s_cbranch_vccnz .LBB18_1543
; %bb.1536:
	global_load_ubyte v3, v[5:6], off
	s_mov_b32 s10, 0
	s_mov_b32 s11, exec_lo
	s_waitcnt vmcnt(0)
	v_cmpx_lt_i16_e32 0x7f, v3
	s_xor_b32 s11, exec_lo, s11
	s_cbranch_execz .LBB18_1557
; %bb.1537:
	s_mov_b32 s10, -1
	s_mov_b32 s12, exec_lo
	v_cmpx_eq_u16_e32 0x80, v3
; %bb.1538:
	s_xor_b32 s10, exec_lo, -1
; %bb.1539:
	s_or_b32 exec_lo, exec_lo, s12
	s_and_b32 s10, s10, exec_lo
	s_or_saveexec_b32 s11, s11
	v_mov_b32_e32 v1, 0x7f800001
	s_xor_b32 exec_lo, exec_lo, s11
	s_cbranch_execnz .LBB18_1558
.LBB18_1540:
	s_or_b32 exec_lo, exec_lo, s11
	s_and_saveexec_b32 s11, s10
	s_cbranch_execz .LBB18_1542
.LBB18_1541:
	v_and_b32_e32 v1, 0xffff, v3
	v_lshlrev_b32_e32 v3, 24, v3
	v_and_b32_e32 v8, 7, v1
	v_bfe_u32 v11, v1, 3, 4
	v_and_b32_e32 v3, 0x80000000, v3
	v_ffbh_u32_e32 v9, v8
	v_cmp_eq_u32_e32 vcc_lo, 0, v11
	v_min_u32_e32 v9, 32, v9
	v_subrev_nc_u32_e32 v10, 28, v9
	v_sub_nc_u32_e32 v9, 29, v9
	v_lshlrev_b32_e32 v1, v10, v1
	v_cndmask_b32_e32 v9, v11, v9, vcc_lo
	v_and_b32_e32 v1, 7, v1
	v_cndmask_b32_e32 v1, v8, v1, vcc_lo
	v_lshl_add_u32 v8, v9, 23, 0x3b800000
	v_lshlrev_b32_e32 v1, 20, v1
	v_or3_b32 v1, v3, v8, v1
.LBB18_1542:
	s_or_b32 exec_lo, exec_lo, s11
.LBB18_1543:
	s_mov_b32 s10, -1
.LBB18_1544:
	s_mov_b32 s11, 0
.LBB18_1545:
	s_and_b32 vcc_lo, exec_lo, s11
	s_cbranch_vccz .LBB18_1578
; %bb.1546:
	s_cmp_gt_i32 s5, 22
	s_cbranch_scc0 .LBB18_1556
; %bb.1547:
	s_cmp_lt_i32 s5, 24
	s_cbranch_scc1 .LBB18_1559
; %bb.1548:
	s_cmp_gt_i32 s5, 24
	s_cbranch_scc0 .LBB18_1560
; %bb.1549:
	global_load_ubyte v3, v[5:6], off
	s_mov_b32 s10, exec_lo
	s_waitcnt vmcnt(0)
	v_cmpx_lt_i16_e32 0x7f, v3
	s_xor_b32 s10, exec_lo, s10
	s_cbranch_execz .LBB18_1572
; %bb.1550:
	s_mov_b32 s3, -1
	s_mov_b32 s11, exec_lo
	v_cmpx_eq_u16_e32 0x80, v3
; %bb.1551:
	s_xor_b32 s3, exec_lo, -1
; %bb.1552:
	s_or_b32 exec_lo, exec_lo, s11
	s_and_b32 s3, s3, exec_lo
	s_or_saveexec_b32 s10, s10
	v_mov_b32_e32 v1, 0x7f800001
	s_xor_b32 exec_lo, exec_lo, s10
	s_cbranch_execnz .LBB18_1573
.LBB18_1553:
	s_or_b32 exec_lo, exec_lo, s10
	s_and_saveexec_b32 s10, s3
	s_cbranch_execz .LBB18_1555
.LBB18_1554:
	v_and_b32_e32 v1, 0xffff, v3
	v_lshlrev_b32_e32 v3, 24, v3
	v_and_b32_e32 v8, 3, v1
	v_bfe_u32 v11, v1, 2, 5
	v_and_b32_e32 v3, 0x80000000, v3
	v_ffbh_u32_e32 v9, v8
	v_cmp_eq_u32_e32 vcc_lo, 0, v11
	v_min_u32_e32 v9, 32, v9
	v_subrev_nc_u32_e32 v10, 29, v9
	v_sub_nc_u32_e32 v9, 30, v9
	v_lshlrev_b32_e32 v1, v10, v1
	v_cndmask_b32_e32 v9, v11, v9, vcc_lo
	v_and_b32_e32 v1, 3, v1
	v_cndmask_b32_e32 v1, v8, v1, vcc_lo
	v_lshl_add_u32 v8, v9, 23, 0x37800000
	v_lshlrev_b32_e32 v1, 21, v1
	v_or3_b32 v1, v3, v8, v1
.LBB18_1555:
	s_or_b32 exec_lo, exec_lo, s10
	s_mov_b32 s3, 0
	s_branch .LBB18_1561
.LBB18_1556:
	s_mov_b32 s3, -1
                                        ; implicit-def: $vgpr1
	s_branch .LBB18_1567
.LBB18_1557:
	s_or_saveexec_b32 s11, s11
	v_mov_b32_e32 v1, 0x7f800001
	s_xor_b32 exec_lo, exec_lo, s11
	s_cbranch_execz .LBB18_1540
.LBB18_1558:
	v_cmp_ne_u16_e32 vcc_lo, 0, v3
	v_mov_b32_e32 v1, 0
	s_andn2_b32 s10, s10, exec_lo
	s_and_b32 s12, vcc_lo, exec_lo
	s_or_b32 s10, s10, s12
	s_or_b32 exec_lo, exec_lo, s11
	s_and_saveexec_b32 s11, s10
	s_cbranch_execnz .LBB18_1541
	s_branch .LBB18_1542
.LBB18_1559:
	s_mov_b32 s3, -1
                                        ; implicit-def: $vgpr1
	s_branch .LBB18_1564
.LBB18_1560:
	s_mov_b32 s3, -1
                                        ; implicit-def: $vgpr1
.LBB18_1561:
	s_and_b32 vcc_lo, exec_lo, s3
	s_cbranch_vccz .LBB18_1563
; %bb.1562:
	global_load_ubyte v1, v[5:6], off
	s_waitcnt vmcnt(0)
	v_lshlrev_b32_e32 v1, 24, v1
	v_and_b32_e32 v3, 0x7f000000, v1
	v_ffbh_u32_e32 v8, v3
	v_add_nc_u32_e32 v10, 0x1000000, v3
	v_cmp_ne_u32_e32 vcc_lo, 0, v3
	v_min_u32_e32 v8, 32, v8
	v_sub_nc_u32_e64 v8, v8, 4 clamp
	v_lshlrev_b32_e32 v9, v8, v3
	v_lshlrev_b32_e32 v8, 23, v8
	v_lshrrev_b32_e32 v9, 4, v9
	v_sub_nc_u32_e32 v8, v9, v8
	v_ashrrev_i32_e32 v9, 8, v10
	v_add_nc_u32_e32 v8, 0x3c000000, v8
	v_and_or_b32 v8, 0x7f800000, v9, v8
	v_cndmask_b32_e32 v3, 0, v8, vcc_lo
	v_and_or_b32 v1, 0x80000000, v1, v3
.LBB18_1563:
	s_mov_b32 s3, 0
.LBB18_1564:
	s_andn2_b32 vcc_lo, exec_lo, s3
	s_cbranch_vccnz .LBB18_1566
; %bb.1565:
	global_load_ubyte v1, v[5:6], off
	s_waitcnt vmcnt(0)
	v_lshlrev_b32_e32 v3, 25, v1
	v_lshlrev_b16 v1, 8, v1
	v_lshrrev_b32_e32 v8, 4, v3
	v_and_or_b32 v9, 0x7f00, v1, 0.5
	v_cmp_gt_u32_e32 vcc_lo, 0x8000000, v3
	v_bfe_i32 v1, v1, 0, 16
	v_or_b32_e32 v8, 0x70000000, v8
	v_add_f32_e32 v9, -0.5, v9
	v_mul_f32_e32 v8, 0x7800000, v8
	v_cndmask_b32_e32 v3, v8, v9, vcc_lo
	v_and_or_b32 v1, 0x80000000, v1, v3
.LBB18_1566:
	s_mov_b32 s3, 0
	s_mov_b32 s10, -1
.LBB18_1567:
	s_andn2_b32 vcc_lo, exec_lo, s3
	s_mov_b32 s3, 0
	s_cbranch_vccnz .LBB18_1578
; %bb.1568:
	s_cmp_gt_i32 s5, 14
	s_cbranch_scc0 .LBB18_1571
; %bb.1569:
	s_cmp_eq_u32 s5, 15
	s_cbranch_scc0 .LBB18_1574
; %bb.1570:
	global_load_ushort v1, v[5:6], off
	s_mov_b32 s0, 0
	s_mov_b32 s10, -1
	s_waitcnt vmcnt(0)
	v_lshlrev_b32_e32 v1, 16, v1
	s_branch .LBB18_1576
.LBB18_1571:
	s_mov_b32 s3, -1
	s_branch .LBB18_1575
.LBB18_1572:
	s_or_saveexec_b32 s10, s10
	v_mov_b32_e32 v1, 0x7f800001
	s_xor_b32 exec_lo, exec_lo, s10
	s_cbranch_execz .LBB18_1553
.LBB18_1573:
	v_cmp_ne_u16_e32 vcc_lo, 0, v3
	v_mov_b32_e32 v1, 0
	s_andn2_b32 s3, s3, exec_lo
	s_and_b32 s11, vcc_lo, exec_lo
	s_or_b32 s3, s3, s11
	s_or_b32 exec_lo, exec_lo, s10
	s_and_saveexec_b32 s10, s3
	s_cbranch_execnz .LBB18_1554
	s_branch .LBB18_1555
.LBB18_1574:
	s_mov_b32 s0, -1
.LBB18_1575:
                                        ; implicit-def: $vgpr1
.LBB18_1576:
	s_and_b32 vcc_lo, exec_lo, s3
	s_mov_b32 s3, 0
	s_cbranch_vccz .LBB18_1578
; %bb.1577:
	s_cmp_lg_u32 s5, 11
	s_mov_b32 s3, -1
	s_cselect_b32 s0, -1, 0
.LBB18_1578:
	s_and_b32 vcc_lo, exec_lo, s0
	s_cbranch_vccnz .LBB18_2124
; %bb.1579:
	s_andn2_b32 vcc_lo, exec_lo, s3
	s_cbranch_vccnz .LBB18_1581
.LBB18_1580:
	global_load_ubyte v1, v[5:6], off
	s_mov_b32 s10, -1
	s_waitcnt vmcnt(0)
	v_cmp_ne_u16_e32 vcc_lo, 0, v1
	v_cndmask_b32_e64 v1, 0, 1.0, vcc_lo
.LBB18_1581:
	s_mov_b32 s0, 0
.LBB18_1582:
	s_and_b32 vcc_lo, exec_lo, s0
	s_cbranch_vccz .LBB18_1631
; %bb.1583:
	s_cmp_lt_i32 s5, 5
	s_cbranch_scc1 .LBB18_1588
; %bb.1584:
	s_cmp_lt_i32 s5, 8
	s_cbranch_scc1 .LBB18_1589
	;; [unrolled: 3-line block ×3, first 2 shown]
; %bb.1586:
	s_cmp_gt_i32 s5, 9
	s_cbranch_scc0 .LBB18_1591
; %bb.1587:
	global_load_dwordx2 v[8:9], v[5:6], off
	s_mov_b32 s0, 0
	s_waitcnt vmcnt(0)
	v_cvt_f32_f64_e32 v1, v[8:9]
	s_branch .LBB18_1592
.LBB18_1588:
	s_mov_b32 s0, -1
                                        ; implicit-def: $vgpr1
	s_branch .LBB18_1610
.LBB18_1589:
	s_mov_b32 s0, -1
                                        ; implicit-def: $vgpr1
	s_branch .LBB18_1598
.LBB18_1590:
	s_mov_b32 s0, -1
                                        ; implicit-def: $vgpr1
	s_branch .LBB18_1595
.LBB18_1591:
	s_mov_b32 s0, -1
                                        ; implicit-def: $vgpr1
.LBB18_1592:
	s_andn2_b32 vcc_lo, exec_lo, s0
	s_cbranch_vccnz .LBB18_1594
; %bb.1593:
	global_load_dword v1, v[5:6], off
.LBB18_1594:
	s_mov_b32 s0, 0
.LBB18_1595:
	s_andn2_b32 vcc_lo, exec_lo, s0
	s_cbranch_vccnz .LBB18_1597
; %bb.1596:
	global_load_dword v1, v[5:6], off
	s_waitcnt vmcnt(0)
	v_cvt_f32_f16_e32 v1, v1
.LBB18_1597:
	s_mov_b32 s0, 0
.LBB18_1598:
	s_andn2_b32 vcc_lo, exec_lo, s0
	s_cbranch_vccnz .LBB18_1609
; %bb.1599:
	s_cmp_lt_i32 s5, 6
	s_cbranch_scc1 .LBB18_1602
; %bb.1600:
	s_cmp_gt_i32 s5, 6
	s_cbranch_scc0 .LBB18_1603
; %bb.1601:
	global_load_dwordx2 v[8:9], v[5:6], off
	s_mov_b32 s0, 0
	s_waitcnt vmcnt(0)
	v_cvt_f32_f64_e32 v1, v[8:9]
	s_branch .LBB18_1604
.LBB18_1602:
	s_mov_b32 s0, -1
                                        ; implicit-def: $vgpr1
	s_branch .LBB18_1607
.LBB18_1603:
	s_mov_b32 s0, -1
                                        ; implicit-def: $vgpr1
.LBB18_1604:
	s_andn2_b32 vcc_lo, exec_lo, s0
	s_cbranch_vccnz .LBB18_1606
; %bb.1605:
	global_load_dword v1, v[5:6], off
.LBB18_1606:
	s_mov_b32 s0, 0
.LBB18_1607:
	s_andn2_b32 vcc_lo, exec_lo, s0
	s_cbranch_vccnz .LBB18_1609
; %bb.1608:
	global_load_ushort v1, v[5:6], off
	s_waitcnt vmcnt(0)
	v_cvt_f32_f16_e32 v1, v1
.LBB18_1609:
	s_mov_b32 s0, 0
.LBB18_1610:
	s_andn2_b32 vcc_lo, exec_lo, s0
	s_cbranch_vccnz .LBB18_1630
; %bb.1611:
	s_cmp_lt_i32 s5, 2
	s_cbranch_scc1 .LBB18_1615
; %bb.1612:
	s_cmp_lt_i32 s5, 3
	s_cbranch_scc1 .LBB18_1616
; %bb.1613:
	s_cmp_gt_i32 s5, 3
	s_cbranch_scc0 .LBB18_1617
; %bb.1614:
	global_load_dwordx2 v[8:9], v[5:6], off
	s_mov_b32 s0, 0
	s_waitcnt vmcnt(0)
	v_xor_b32_e32 v1, v8, v9
	v_ffbh_i32_e32 v3, v9
	v_ashrrev_i32_e32 v1, 31, v1
	v_add_nc_u32_e32 v3, -1, v3
	v_add_nc_u32_e32 v1, 32, v1
	v_min_u32_e32 v1, v3, v1
	v_lshlrev_b64 v[8:9], v1, v[8:9]
	v_sub_nc_u32_e32 v1, 32, v1
	v_min_u32_e32 v3, 1, v8
	v_or_b32_e32 v3, v9, v3
	v_cvt_f32_i32_e32 v3, v3
	v_ldexp_f32 v1, v3, v1
	s_branch .LBB18_1618
.LBB18_1615:
	s_mov_b32 s0, -1
                                        ; implicit-def: $vgpr1
	s_branch .LBB18_1624
.LBB18_1616:
	s_mov_b32 s0, -1
                                        ; implicit-def: $vgpr1
	s_branch .LBB18_1621
.LBB18_1617:
	s_mov_b32 s0, -1
                                        ; implicit-def: $vgpr1
.LBB18_1618:
	s_andn2_b32 vcc_lo, exec_lo, s0
	s_cbranch_vccnz .LBB18_1620
; %bb.1619:
	global_load_dword v1, v[5:6], off
	s_waitcnt vmcnt(0)
	v_cvt_f32_i32_e32 v1, v1
.LBB18_1620:
	s_mov_b32 s0, 0
.LBB18_1621:
	s_andn2_b32 vcc_lo, exec_lo, s0
	s_cbranch_vccnz .LBB18_1623
; %bb.1622:
	global_load_sshort v1, v[5:6], off
	s_waitcnt vmcnt(0)
	v_cvt_f32_i32_e32 v1, v1
.LBB18_1623:
	s_mov_b32 s0, 0
.LBB18_1624:
	s_andn2_b32 vcc_lo, exec_lo, s0
	s_cbranch_vccnz .LBB18_1630
; %bb.1625:
	s_cmp_gt_i32 s5, 0
	s_mov_b32 s0, 0
	s_cbranch_scc0 .LBB18_1627
; %bb.1626:
	global_load_sbyte v1, v[5:6], off
	s_waitcnt vmcnt(0)
	v_cvt_f32_i32_e32 v1, v1
	s_branch .LBB18_1628
.LBB18_1627:
	s_mov_b32 s0, -1
                                        ; implicit-def: $vgpr1
.LBB18_1628:
	s_andn2_b32 vcc_lo, exec_lo, s0
	s_cbranch_vccnz .LBB18_1630
; %bb.1629:
	global_load_ubyte v1, v[5:6], off
	s_waitcnt vmcnt(0)
	v_cvt_f32_ubyte0_e32 v1, v1
.LBB18_1630:
	s_mov_b32 s10, -1
.LBB18_1631:
	s_andn2_b32 vcc_lo, exec_lo, s10
	s_cbranch_vccnz .LBB18_1722
; %bb.1632:
	s_waitcnt vmcnt(0)
	v_mul_f32_e64 v3, 0x3fb8aa3b, |v1|
	s_mov_b32 s3, exec_lo
                                        ; implicit-def: $vgpr6
	v_cmpx_ge_f32_e64 0x41000000, |v1|
	s_xor_b32 s3, exec_lo, s3
	s_cbranch_execz .LBB18_1638
; %bb.1633:
	v_fma_f32 v5, |v1|, 0.5, -2.0
	s_mov_b32 s0, 0x224cf950
	v_rndne_f32_e32 v9, v3
	v_fma_f32 v10, 0x3fb8aa3b, |v1|, -v3
	v_cmp_ngt_f32_e64 vcc_lo, 0xc2ce8ed0, |v1|
	v_fmaak_f32 v6, s0, v5, 0xa3c2be86
	v_cmp_nlt_f32_e64 s0, 0x42b17218, |v1|
	v_sub_f32_e32 v3, v3, v9
	v_fma_f32 v10, 0x32a5705f, |v1|, v10
	v_fmaak_f32 v8, v5, v6, 0xa24cf950
	v_add_f32_e32 v3, v3, v10
	v_add_f32_e32 v8, 0x25331f1f, v8
	v_exp_f32_e32 v3, v3
	v_fma_f32 v6, v5, v8, -v6
	v_add_f32_e32 v6, 0xa69f5554, v6
	v_fma_f32 v8, v5, v6, -v8
	v_add_f32_e32 v8, 0x2808ebf8, v8
	;; [unrolled: 2-line block ×25, first 2 shown]
	v_fma_f32 v5, v5, v6, -v8
	v_cvt_i32_f32_e32 v6, v9
	v_add_f32_e32 v5, 0x3e81531c, v5
	v_ldexp_f32 v3, v3, v6
	v_sub_f32_e32 v5, v5, v8
	v_cndmask_b32_e32 v6, 0, v3, vcc_lo
	v_cmp_ngt_f32_e32 vcc_lo, 0, v1
	v_mul_f32_e32 v5, 0.5, v5
	v_mul_f32_e64 v3, |v1|, v5
	v_cndmask_b32_e64 v1, 0x7f800000, v6, s0
                                        ; implicit-def: $vgpr6
	s_and_saveexec_b32 s0, vcc_lo
	s_xor_b32 s0, exec_lo, s0
; %bb.1634:
	v_mul_f32_e32 v6, v1, v3
                                        ; implicit-def: $vgpr1
                                        ; implicit-def: $vgpr3
; %bb.1635:
	s_andn2_saveexec_b32 s0, s0
; %bb.1636:
	v_mul_f32_e64 v6, v3, -v1
; %bb.1637:
	s_or_b32 exec_lo, exec_lo, s0
                                        ; implicit-def: $vgpr1
                                        ; implicit-def: $vgpr3
.LBB18_1638:
	s_andn2_saveexec_b32 s3, s3
	s_cbranch_execz .LBB18_1644
; %bb.1639:
	v_and_b32_e32 v5, 0x7fffffff, v1
	s_mov_b32 s0, 0x230aab6e
	v_div_scale_f32 v6, null, v5, v5, 0x42000000
	v_div_scale_f32 v5, vcc_lo, 0x42000000, v5, 0x42000000
	v_rcp_f32_e32 v8, v6
	v_fma_f32 v9, -v6, v8, 1.0
	v_fmac_f32_e32 v8, v9, v8
	v_mul_f32_e32 v9, v5, v8
	v_fma_f32 v10, -v6, v9, v5
	v_fmac_f32_e32 v9, v10, v8
	v_fma_f32 v10, 0x3fb8aa3b, |v1|, -v3
	v_fma_f32 v5, -v6, v9, v5
	v_fma_f32 v10, 0x32a5705f, |v1|, v10
	v_div_fmas_f32 v5, v5, v8, v9
	v_rndne_f32_e32 v9, v3
	v_cmp_ngt_f32_e64 vcc_lo, 0xc2ce8ed0, |v1|
	v_div_fixup_f32 v5, v5, |v1|, 0x42000000
	v_sub_f32_e32 v3, v3, v9
	v_cvt_i32_f32_e32 v9, v9
	v_add_f32_e32 v5, -2.0, v5
	v_add_f32_e32 v3, v3, v10
	v_fmaak_f32 v6, s0, v5, 0x22a2dc57
	v_exp_f32_e32 v3, v3
	v_cmp_nlt_f32_e64 s0, 0x42b17218, |v1|
	v_fmaak_f32 v8, v5, v6, 0xa30aab6e
	v_add_f32_e32 v8, 0xa456751e, v8
	v_ldexp_f32 v3, v3, v9
	v_fma_f32 v6, v5, v8, -v6
	v_cndmask_b32_e32 v3, 0, v3, vcc_lo
	v_add_f32_e32 v6, 0xa4140365, v6
	v_cndmask_b32_e64 v3, 0x7f800000, v3, s0
	s_mov_b32 s0, exec_lo
	v_fma_f32 v8, v5, v6, -v8
	v_add_f32_e32 v8, 0x25aac8b0, v8
	v_fma_f32 v6, v5, v8, -v6
	v_add_f32_e32 v6, 0x25beb473, v6
	;; [unrolled: 2-line block ×20, first 2 shown]
	v_fma_f32 v5, v5, v6, -v8
                                        ; implicit-def: $vgpr6
	v_add_f32_e32 v5, 0x3f4750c6, v5
	v_sub_f32_e32 v5, v5, v8
	v_mul_f32_e64 v8, 0x4f800000, |v1|
	v_cmpx_ngt_f32_e32 0, v1
	s_xor_b32 s5, exec_lo, s0
	s_cbranch_execz .LBB18_1641
; %bb.1640:
	v_cmp_gt_f32_e64 vcc_lo, 0xf800000, |v1|
	v_mul_f32_e32 v5, 0.5, v5
	v_cndmask_b32_e64 v1, |v1|, v8, vcc_lo
	v_mul_f32_e32 v3, v3, v5
	v_sqrt_f32_e32 v6, v1
	v_add_nc_u32_e32 v8, -1, v6
	v_add_nc_u32_e32 v9, 1, v6
	v_fma_f32 v10, -v8, v6, v1
	v_fma_f32 v11, -v9, v6, v1
	v_cmp_ge_f32_e64 s0, 0, v10
	v_cndmask_b32_e64 v6, v6, v8, s0
	v_cmp_lt_f32_e64 s0, 0, v11
	v_cndmask_b32_e64 v6, v6, v9, s0
	v_mul_f32_e32 v8, 0x37800000, v6
	v_cndmask_b32_e32 v6, v6, v8, vcc_lo
	v_cmp_class_f32_e64 vcc_lo, v1, 0x260
	v_cndmask_b32_e32 v1, v6, v1, vcc_lo
	v_div_scale_f32 v5, null, v1, v1, v3
	v_rcp_f32_e32 v6, v5
	v_fma_f32 v8, -v5, v6, 1.0
	v_fmac_f32_e32 v6, v8, v6
	v_div_scale_f32 v8, vcc_lo, v3, v1, v3
	v_mul_f32_e32 v9, v8, v6
	v_fma_f32 v10, -v5, v9, v8
	v_fmac_f32_e32 v9, v10, v6
	v_fma_f32 v5, -v5, v9, v8
                                        ; implicit-def: $vgpr8
	v_div_fmas_f32 v5, v5, v6, v9
	v_div_fixup_f32 v6, v5, v1, v3
                                        ; implicit-def: $vgpr1
                                        ; implicit-def: $vgpr5
                                        ; implicit-def: $vgpr3
.LBB18_1641:
	s_andn2_saveexec_b32 s5, s5
	s_cbranch_execz .LBB18_1643
; %bb.1642:
	v_cmp_gt_f32_e64 vcc_lo, 0xf800000, |v1|
	v_mul_f32_e32 v5, -0.5, v5
	v_cndmask_b32_e64 v1, |v1|, v8, vcc_lo
	v_mul_f32_e32 v3, v3, v5
	v_sqrt_f32_e32 v6, v1
	v_add_nc_u32_e32 v8, -1, v6
	v_add_nc_u32_e32 v9, 1, v6
	v_fma_f32 v10, -v8, v6, v1
	v_fma_f32 v11, -v9, v6, v1
	v_cmp_ge_f32_e64 s0, 0, v10
	v_cndmask_b32_e64 v6, v6, v8, s0
	v_cmp_lt_f32_e64 s0, 0, v11
	v_cndmask_b32_e64 v6, v6, v9, s0
	v_mul_f32_e32 v8, 0x37800000, v6
	v_cndmask_b32_e32 v6, v6, v8, vcc_lo
	v_cmp_class_f32_e64 vcc_lo, v1, 0x260
	v_cndmask_b32_e32 v1, v6, v1, vcc_lo
	v_div_scale_f32 v5, null, v1, v1, v3
	v_rcp_f32_e32 v6, v5
	v_fma_f32 v8, -v5, v6, 1.0
	v_fmac_f32_e32 v6, v8, v6
	v_div_scale_f32 v8, vcc_lo, v3, v1, v3
	v_mul_f32_e32 v9, v8, v6
	v_fma_f32 v10, -v5, v9, v8
	v_fmac_f32_e32 v9, v10, v6
	v_fma_f32 v5, -v5, v9, v8
	v_div_fmas_f32 v5, v5, v6, v9
	v_div_fixup_f32 v6, v5, v1, v3
.LBB18_1643:
	s_or_b32 exec_lo, exec_lo, s5
.LBB18_1644:
	s_or_b32 exec_lo, exec_lo, s3
	v_mul_lo_u32 v3, s2, v7
	s_and_b32 s12, s1, 0xff
	s_cmp_lt_i32 s12, 11
	v_ashrrev_i32_e32 v1, 31, v3
	v_add_co_u32 v7, vcc_lo, s8, v3
	v_add_co_ci_u32_e64 v8, null, s9, v1, vcc_lo
	s_cbranch_scc1 .LBB18_1767
; %bb.1645:
	s_and_b32 s1, 0xffff, s12
	s_mov_b32 s10, -1
	s_mov_b32 s3, 0
	s_cmp_gt_i32 s1, 25
	s_mov_b32 s5, 0
	s_mov_b32 s0, 0
	s_cbranch_scc0 .LBB18_1678
; %bb.1646:
	s_cmp_gt_i32 s1, 28
	s_cbranch_scc0 .LBB18_1661
; %bb.1647:
	s_cmp_gt_i32 s1, 43
	;; [unrolled: 3-line block ×3, first 2 shown]
	s_cbranch_scc0 .LBB18_1651
; %bb.1649:
	s_mov_b32 s0, -1
	s_mov_b32 s10, 0
	s_cmp_eq_u32 s1, 46
	s_cbranch_scc0 .LBB18_1651
; %bb.1650:
	v_bfe_u32 v1, v0, 16, 1
	v_cmp_o_f32_e32 vcc_lo, v0, v0
	v_mov_b32_e32 v5, 0x7fc0
	s_mov_b32 s0, 0
	s_mov_b32 s5, -1
	v_add3_u32 v1, v0, v1, 0x7fff
	v_cndmask_b32_sdwa v1, v5, v1, vcc_lo dst_sel:DWORD dst_unused:UNUSED_PAD src0_sel:DWORD src1_sel:WORD_1
	global_store_dword v[7:8], v1, off
.LBB18_1651:
	s_and_b32 vcc_lo, exec_lo, s10
	s_cbranch_vccz .LBB18_1656
; %bb.1652:
	s_cmp_eq_u32 s1, 44
	s_mov_b32 s0, -1
	s_cbranch_scc0 .LBB18_1656
; %bb.1653:
	v_bfe_u32 v5, v0, 23, 8
	v_mov_b32_e32 v1, 0xff
	s_mov_b32 s5, exec_lo
	v_cmpx_ne_u32_e32 0xff, v5
	s_cbranch_execz .LBB18_1655
; %bb.1654:
	v_and_b32_e32 v1, 0x400000, v0
	v_and_or_b32 v5, 0x3fffff, v0, v5
	v_cmp_ne_u32_e32 vcc_lo, 0, v1
	v_cmp_ne_u32_e64 s0, 0, v5
	v_lshrrev_b32_e32 v1, 23, v0
	s_and_b32 s0, vcc_lo, s0
	v_cndmask_b32_e64 v5, 0, 1, s0
	v_add_nc_u32_e32 v1, v1, v5
.LBB18_1655:
	s_or_b32 exec_lo, exec_lo, s5
	s_mov_b32 s0, 0
	s_mov_b32 s5, -1
	global_store_byte v[7:8], v1, off
.LBB18_1656:
	s_mov_b32 s10, 0
.LBB18_1657:
	s_and_b32 vcc_lo, exec_lo, s10
	s_cbranch_vccz .LBB18_1660
; %bb.1658:
	s_cmp_eq_u32 s1, 29
	s_mov_b32 s0, -1
	s_cbranch_scc0 .LBB18_1660
; %bb.1659:
	v_trunc_f32_e32 v1, v0
	s_mov_b32 s0, 0
	s_mov_b32 s5, -1
	v_mul_f32_e32 v5, 0x2f800000, v1
	v_floor_f32_e32 v5, v5
	v_fmamk_f32 v1, v5, 0xcf800000, v1
	v_cvt_u32_f32_e32 v10, v5
	v_cvt_u32_f32_e32 v9, v1
	global_store_dwordx2 v[7:8], v[9:10], off
.LBB18_1660:
	s_mov_b32 s10, 0
.LBB18_1661:
	s_and_b32 vcc_lo, exec_lo, s10
	s_cbranch_vccz .LBB18_1677
; %bb.1662:
	s_cmp_lt_i32 s1, 27
	s_mov_b32 s5, -1
	s_cbranch_scc1 .LBB18_1668
; %bb.1663:
	v_cvt_u32_f32_e32 v1, v0
	s_cmp_gt_i32 s1, 27
	s_cbranch_scc0 .LBB18_1665
; %bb.1664:
	s_mov_b32 s5, 0
	global_store_dword v[7:8], v1, off
.LBB18_1665:
	s_andn2_b32 vcc_lo, exec_lo, s5
	s_cbranch_vccnz .LBB18_1667
; %bb.1666:
	global_store_short v[7:8], v1, off
.LBB18_1667:
	s_mov_b32 s5, 0
.LBB18_1668:
	s_andn2_b32 vcc_lo, exec_lo, s5
	s_cbranch_vccnz .LBB18_1676
; %bb.1669:
	v_and_b32_e32 v1, 0x7fffffff, v0
	v_mov_b32_e32 v5, 0x80
	s_mov_b32 s5, exec_lo
	v_cmpx_gt_u32_e32 0x43800000, v1
	s_cbranch_execz .LBB18_1675
; %bb.1670:
	v_cmp_lt_u32_e32 vcc_lo, 0x3bffffff, v1
	s_mov_b32 s10, 0
                                        ; implicit-def: $vgpr1
	s_and_saveexec_b32 s11, vcc_lo
	s_xor_b32 s11, exec_lo, s11
	s_cbranch_execz .LBB18_2125
; %bb.1671:
	v_bfe_u32 v1, v0, 20, 1
	s_mov_b32 s10, exec_lo
	v_add3_u32 v1, v0, v1, 0x487ffff
	v_lshrrev_b32_e32 v1, 20, v1
	s_andn2_saveexec_b32 s11, s11
	s_cbranch_execnz .LBB18_2126
.LBB18_1672:
	s_or_b32 exec_lo, exec_lo, s11
	v_mov_b32_e32 v5, 0
	s_and_saveexec_b32 s11, s10
.LBB18_1673:
	v_lshrrev_b32_e32 v5, 24, v0
	v_and_or_b32 v5, 0x80, v5, v1
.LBB18_1674:
	s_or_b32 exec_lo, exec_lo, s11
.LBB18_1675:
	s_or_b32 exec_lo, exec_lo, s5
	global_store_byte v[7:8], v5, off
.LBB18_1676:
	s_mov_b32 s5, -1
.LBB18_1677:
	s_mov_b32 s10, 0
.LBB18_1678:
	s_and_b32 vcc_lo, exec_lo, s10
	s_cbranch_vccz .LBB18_1718
; %bb.1679:
	s_cmp_gt_i32 s1, 22
	s_mov_b32 s3, -1
	s_cbranch_scc0 .LBB18_1711
; %bb.1680:
	s_cmp_lt_i32 s1, 24
	s_cbranch_scc1 .LBB18_1700
; %bb.1681:
	s_cmp_gt_i32 s1, 24
	s_cbranch_scc0 .LBB18_1689
; %bb.1682:
	v_and_b32_e32 v1, 0x7fffffff, v0
	v_mov_b32_e32 v5, 0x80
	s_mov_b32 s3, exec_lo
	v_cmpx_gt_u32_e32 0x47800000, v1
	s_cbranch_execz .LBB18_1688
; %bb.1683:
	v_cmp_lt_u32_e32 vcc_lo, 0x37ffffff, v1
	s_mov_b32 s5, 0
                                        ; implicit-def: $vgpr1
	s_and_saveexec_b32 s10, vcc_lo
	s_xor_b32 s10, exec_lo, s10
	s_cbranch_execz .LBB18_2128
; %bb.1684:
	v_bfe_u32 v1, v0, 21, 1
	s_mov_b32 s5, exec_lo
	v_add3_u32 v1, v0, v1, 0x88fffff
	v_lshrrev_b32_e32 v1, 21, v1
	s_andn2_saveexec_b32 s10, s10
	s_cbranch_execnz .LBB18_2129
.LBB18_1685:
	s_or_b32 exec_lo, exec_lo, s10
	v_mov_b32_e32 v5, 0
	s_and_saveexec_b32 s10, s5
.LBB18_1686:
	v_lshrrev_b32_e32 v5, 24, v0
	v_and_or_b32 v5, 0x80, v5, v1
.LBB18_1687:
	s_or_b32 exec_lo, exec_lo, s10
.LBB18_1688:
	s_or_b32 exec_lo, exec_lo, s3
	s_mov_b32 s3, 0
	global_store_byte v[7:8], v5, off
.LBB18_1689:
	s_and_b32 vcc_lo, exec_lo, s3
	s_cbranch_vccz .LBB18_1699
; %bb.1690:
	v_and_b32_e32 v5, 0x7fffffff, v0
	s_mov_b32 s3, exec_lo
                                        ; implicit-def: $vgpr1
	v_cmpx_gt_u32_e32 0x43f00000, v5
	s_xor_b32 s3, exec_lo, s3
	s_cbranch_execz .LBB18_1696
; %bb.1691:
	s_mov_b32 s5, exec_lo
                                        ; implicit-def: $vgpr1
	v_cmpx_lt_u32_e32 0x3c7fffff, v5
	s_xor_b32 s5, exec_lo, s5
; %bb.1692:
	v_bfe_u32 v1, v0, 20, 1
	v_add3_u32 v1, v0, v1, 0x407ffff
	v_and_b32_e32 v5, 0xff00000, v1
	v_lshrrev_b32_e32 v1, 20, v1
	v_cmp_ne_u32_e32 vcc_lo, 0x7f00000, v5
	v_cndmask_b32_e32 v1, 0x7e, v1, vcc_lo
; %bb.1693:
	s_andn2_saveexec_b32 s5, s5
; %bb.1694:
	v_add_f32_e64 v1, 0x46800000, |v0|
; %bb.1695:
	s_or_b32 exec_lo, exec_lo, s5
                                        ; implicit-def: $vgpr5
.LBB18_1696:
	s_andn2_saveexec_b32 s3, s3
; %bb.1697:
	v_mov_b32_e32 v1, 0x7f
	v_cmp_lt_u32_e32 vcc_lo, 0x7f800000, v5
	v_cndmask_b32_e32 v1, 0x7e, v1, vcc_lo
; %bb.1698:
	s_or_b32 exec_lo, exec_lo, s3
	v_lshrrev_b32_e32 v5, 24, v0
	v_and_or_b32 v1, 0x80, v5, v1
	global_store_byte v[7:8], v1, off
.LBB18_1699:
	s_mov_b32 s3, 0
.LBB18_1700:
	s_andn2_b32 vcc_lo, exec_lo, s3
	s_cbranch_vccnz .LBB18_1710
; %bb.1701:
	v_and_b32_e32 v5, 0x7fffffff, v0
	s_mov_b32 s3, exec_lo
                                        ; implicit-def: $vgpr1
	v_cmpx_gt_u32_e32 0x47800000, v5
	s_xor_b32 s3, exec_lo, s3
	s_cbranch_execz .LBB18_1707
; %bb.1702:
	s_mov_b32 s5, exec_lo
                                        ; implicit-def: $vgpr1
	v_cmpx_lt_u32_e32 0x387fffff, v5
	s_xor_b32 s5, exec_lo, s5
; %bb.1703:
	v_bfe_u32 v1, v0, 21, 1
	v_add3_u32 v1, v0, v1, 0x80fffff
	v_lshrrev_b32_e32 v1, 21, v1
; %bb.1704:
	s_andn2_saveexec_b32 s5, s5
; %bb.1705:
	v_add_f32_e64 v1, 0x43000000, |v0|
; %bb.1706:
	s_or_b32 exec_lo, exec_lo, s5
                                        ; implicit-def: $vgpr5
.LBB18_1707:
	s_andn2_saveexec_b32 s3, s3
; %bb.1708:
	v_mov_b32_e32 v1, 0x7f
	v_cmp_lt_u32_e32 vcc_lo, 0x7f800000, v5
	v_cndmask_b32_e32 v1, 0x7c, v1, vcc_lo
; %bb.1709:
	s_or_b32 exec_lo, exec_lo, s3
	v_lshrrev_b32_e32 v5, 24, v0
	v_and_or_b32 v1, 0x80, v5, v1
	global_store_byte v[7:8], v1, off
.LBB18_1710:
	s_mov_b32 s3, 0
	s_mov_b32 s5, -1
.LBB18_1711:
	s_andn2_b32 vcc_lo, exec_lo, s3
	s_mov_b32 s3, 0
	s_cbranch_vccnz .LBB18_1718
; %bb.1712:
	s_cmp_gt_i32 s1, 14
	s_mov_b32 s3, -1
	s_cbranch_scc0 .LBB18_1716
; %bb.1713:
	s_cmp_eq_u32 s1, 15
	s_mov_b32 s0, -1
	s_cbranch_scc0 .LBB18_1715
; %bb.1714:
	v_bfe_u32 v1, v0, 16, 1
	v_cmp_o_f32_e32 vcc_lo, v0, v0
	v_mov_b32_e32 v5, 0x7fc0
	s_mov_b32 s0, 0
	s_mov_b32 s5, -1
	v_add3_u32 v1, v0, v1, 0x7fff
	v_cndmask_b32_sdwa v1, v5, v1, vcc_lo dst_sel:DWORD dst_unused:UNUSED_PAD src0_sel:DWORD src1_sel:WORD_1
	global_store_short v[7:8], v1, off
.LBB18_1715:
	s_mov_b32 s3, 0
.LBB18_1716:
	s_and_b32 vcc_lo, exec_lo, s3
	s_mov_b32 s3, 0
	s_cbranch_vccz .LBB18_1718
; %bb.1717:
	s_cmp_lg_u32 s1, 11
	s_mov_b32 s3, -1
	s_cselect_b32 s0, -1, 0
.LBB18_1718:
	s_and_b32 vcc_lo, exec_lo, s0
	s_cbranch_vccnz .LBB18_2127
; %bb.1719:
	s_andn2_b32 vcc_lo, exec_lo, s3
	s_cbranch_vccnz .LBB18_1721
.LBB18_1720:
	v_cmp_neq_f32_e32 vcc_lo, 0, v0
	s_mov_b32 s5, -1
	v_cndmask_b32_e64 v1, 0, 1, vcc_lo
	global_store_byte v[7:8], v1, off
.LBB18_1721:
	s_mov_b32 s0, 0
	s_branch .LBB18_1768
.LBB18_1722:
	s_mov_b32 s0, 0
	s_mov_b32 s2, 0
                                        ; implicit-def: $sgpr12
                                        ; implicit-def: $vgpr0_vgpr1
                                        ; implicit-def: $vgpr6
.LBB18_1723:
	s_andn2_b32 s1, s7, exec_lo
	s_and_b32 s3, s4, exec_lo
	s_and_b32 s0, s0, exec_lo
	;; [unrolled: 1-line block ×3, first 2 shown]
	s_or_b32 s7, s1, s3
.LBB18_1724:
	s_or_b32 exec_lo, exec_lo, s6
	s_and_saveexec_b32 s1, s7
	s_cbranch_execz .LBB18_1727
; %bb.1725:
	; divergent unreachable
	s_or_b32 exec_lo, exec_lo, s1
	s_and_saveexec_b32 s1, s4
	s_xor_b32 s1, exec_lo, s1
	s_cbranch_execnz .LBB18_1728
.LBB18_1726:
	s_or_b32 exec_lo, exec_lo, s1
	s_and_saveexec_b32 s1, s0
	s_cbranch_execnz .LBB18_1729
	s_branch .LBB18_1766
.LBB18_1727:
	s_or_b32 exec_lo, exec_lo, s1
	s_and_saveexec_b32 s1, s4
	s_xor_b32 s1, exec_lo, s1
	s_cbranch_execz .LBB18_1726
.LBB18_1728:
	v_cmp_neq_f32_e32 vcc_lo, 0, v6
	s_waitcnt vmcnt(0)
	v_cndmask_b32_e64 v2, 0, 1, vcc_lo
	global_store_byte v[0:1], v2, off
	s_or_b32 exec_lo, exec_lo, s1
	s_and_saveexec_b32 s1, s0
	s_cbranch_execz .LBB18_1766
.LBB18_1729:
	s_sext_i32_i16 s1, s12
	s_mov_b32 s0, -1
	s_cmp_lt_i32 s1, 5
	s_cbranch_scc1 .LBB18_1750
; %bb.1730:
	s_cmp_lt_i32 s1, 8
	s_cbranch_scc1 .LBB18_1740
; %bb.1731:
	;; [unrolled: 3-line block ×3, first 2 shown]
	s_cmp_gt_i32 s1, 9
	s_cbranch_scc0 .LBB18_1734
; %bb.1733:
	s_waitcnt vmcnt(0)
	v_cvt_f64_f32_e32 v[2:3], v6
	v_mov_b32_e32 v4, 0
	s_mov_b32 s0, 0
	v_mov_b32_e32 v5, v4
	global_store_dwordx4 v[0:1], v[2:5], off
.LBB18_1734:
	s_andn2_b32 vcc_lo, exec_lo, s0
	s_cbranch_vccnz .LBB18_1736
; %bb.1735:
	v_mov_b32_e32 v7, 0
	s_waitcnt vmcnt(0)
	global_store_dwordx2 v[0:1], v[6:7], off
.LBB18_1736:
	s_mov_b32 s0, 0
.LBB18_1737:
	s_andn2_b32 vcc_lo, exec_lo, s0
	s_cbranch_vccnz .LBB18_1739
; %bb.1738:
	s_waitcnt vmcnt(0)
	v_cvt_f16_f32_e32 v2, v6
	v_and_b32_e32 v2, 0xffff, v2
	global_store_dword v[0:1], v2, off
.LBB18_1739:
	s_mov_b32 s0, 0
.LBB18_1740:
	s_andn2_b32 vcc_lo, exec_lo, s0
	s_cbranch_vccnz .LBB18_1749
; %bb.1741:
	s_sext_i32_i16 s1, s12
	s_mov_b32 s0, -1
	s_cmp_lt_i32 s1, 6
	s_cbranch_scc1 .LBB18_1747
; %bb.1742:
	s_cmp_gt_i32 s1, 6
	s_cbranch_scc0 .LBB18_1744
; %bb.1743:
	s_waitcnt vmcnt(0)
	v_cvt_f64_f32_e32 v[2:3], v6
	s_mov_b32 s0, 0
	global_store_dwordx2 v[0:1], v[2:3], off
.LBB18_1744:
	s_andn2_b32 vcc_lo, exec_lo, s0
	s_cbranch_vccnz .LBB18_1746
; %bb.1745:
	s_waitcnt vmcnt(0)
	global_store_dword v[0:1], v6, off
.LBB18_1746:
	s_mov_b32 s0, 0
.LBB18_1747:
	s_andn2_b32 vcc_lo, exec_lo, s0
	s_cbranch_vccnz .LBB18_1749
; %bb.1748:
	s_waitcnt vmcnt(0)
	v_cvt_f16_f32_e32 v2, v6
	global_store_short v[0:1], v2, off
.LBB18_1749:
	s_mov_b32 s0, 0
.LBB18_1750:
	s_andn2_b32 vcc_lo, exec_lo, s0
	s_cbranch_vccnz .LBB18_1766
; %bb.1751:
	s_sext_i32_i16 s1, s12
	s_mov_b32 s0, -1
	s_cmp_lt_i32 s1, 2
	s_cbranch_scc1 .LBB18_1761
; %bb.1752:
	s_cmp_lt_i32 s1, 3
	s_cbranch_scc1 .LBB18_1758
; %bb.1753:
	s_cmp_gt_i32 s1, 3
	s_cbranch_scc0 .LBB18_1755
; %bb.1754:
	s_waitcnt vmcnt(0)
	v_trunc_f32_e32 v2, v6
	s_mov_b32 s0, 0
	v_mul_f32_e64 v3, 0x2f800000, |v2|
	v_ashrrev_i32_e32 v5, 31, v2
	v_floor_f32_e32 v3, v3
	v_fma_f32 v4, 0xcf800000, v3, |v2|
	v_cvt_u32_f32_e32 v3, v3
	v_cvt_u32_f32_e32 v2, v4
	v_xor_b32_e32 v3, v3, v5
	v_xor_b32_e32 v2, v2, v5
	v_sub_co_u32 v2, vcc_lo, v2, v5
	v_sub_co_ci_u32_e64 v3, null, v3, v5, vcc_lo
	global_store_dwordx2 v[0:1], v[2:3], off
.LBB18_1755:
	s_andn2_b32 vcc_lo, exec_lo, s0
	s_cbranch_vccnz .LBB18_1757
; %bb.1756:
	s_waitcnt vmcnt(0)
	v_cvt_i32_f32_e32 v2, v6
	global_store_dword v[0:1], v2, off
.LBB18_1757:
	s_mov_b32 s0, 0
.LBB18_1758:
	s_andn2_b32 vcc_lo, exec_lo, s0
	s_cbranch_vccnz .LBB18_1760
; %bb.1759:
	s_waitcnt vmcnt(0)
	v_cvt_i32_f32_e32 v2, v6
	global_store_short v[0:1], v2, off
.LBB18_1760:
	s_mov_b32 s0, 0
.LBB18_1761:
	s_andn2_b32 vcc_lo, exec_lo, s0
	s_cbranch_vccnz .LBB18_1766
; %bb.1762:
	s_sext_i32_i16 s0, s12
	s_cmp_gt_i32 s0, 0
	s_mov_b32 s0, -1
	s_cbranch_scc0 .LBB18_1764
; %bb.1763:
	s_waitcnt vmcnt(0)
	v_cvt_i32_f32_e32 v2, v6
	s_mov_b32 s0, 0
	global_store_byte v[0:1], v2, off
.LBB18_1764:
	s_andn2_b32 vcc_lo, exec_lo, s0
	s_cbranch_vccnz .LBB18_1766
; %bb.1765:
	s_waitcnt vmcnt(0)
	v_trunc_f32_e32 v2, v6
	v_mul_f32_e64 v3, 0x2f800000, |v2|
	v_floor_f32_e32 v3, v3
	v_fma_f32 v3, 0xcf800000, v3, |v2|
	v_ashrrev_i32_e32 v2, 31, v2
	v_cvt_u32_f32_e32 v3, v3
	v_xor_b32_e32 v3, v3, v2
	v_sub_nc_u32_e32 v2, v3, v2
	global_store_byte v[0:1], v2, off
	s_endpgm
.LBB18_1766:
	s_endpgm
.LBB18_1767:
	s_mov_b32 s0, -1
	s_mov_b32 s5, 0
.LBB18_1768:
	s_and_b32 vcc_lo, exec_lo, s0
	s_cbranch_vccz .LBB18_1807
; %bb.1769:
	s_and_b32 s0, 0xffff, s12
	s_mov_b32 s1, -1
	s_cmp_lt_i32 s0, 5
	s_cbranch_scc1 .LBB18_1790
; %bb.1770:
	s_cmp_lt_i32 s0, 8
	s_cbranch_scc1 .LBB18_1780
; %bb.1771:
	;; [unrolled: 3-line block ×3, first 2 shown]
	s_cmp_gt_i32 s0, 9
	s_cbranch_scc0 .LBB18_1774
; %bb.1773:
	v_cvt_f64_f32_e32 v[9:10], v0
	v_mov_b32_e32 v11, 0
	s_mov_b32 s1, 0
	v_mov_b32_e32 v12, v11
	global_store_dwordx4 v[7:8], v[9:12], off
.LBB18_1774:
	s_andn2_b32 vcc_lo, exec_lo, s1
	s_cbranch_vccnz .LBB18_1776
; %bb.1775:
	v_mov_b32_e32 v1, 0
	global_store_dwordx2 v[7:8], v[0:1], off
.LBB18_1776:
	s_mov_b32 s1, 0
.LBB18_1777:
	s_andn2_b32 vcc_lo, exec_lo, s1
	s_cbranch_vccnz .LBB18_1779
; %bb.1778:
	v_cvt_f16_f32_e32 v1, v0
	v_and_b32_e32 v1, 0xffff, v1
	global_store_dword v[7:8], v1, off
.LBB18_1779:
	s_mov_b32 s1, 0
.LBB18_1780:
	s_andn2_b32 vcc_lo, exec_lo, s1
	s_cbranch_vccnz .LBB18_1789
; %bb.1781:
	s_cmp_lt_i32 s0, 6
	s_mov_b32 s1, -1
	s_cbranch_scc1 .LBB18_1787
; %bb.1782:
	s_cmp_gt_i32 s0, 6
	s_cbranch_scc0 .LBB18_1784
; %bb.1783:
	v_cvt_f64_f32_e32 v[9:10], v0
	s_mov_b32 s1, 0
	global_store_dwordx2 v[7:8], v[9:10], off
.LBB18_1784:
	s_andn2_b32 vcc_lo, exec_lo, s1
	s_cbranch_vccnz .LBB18_1786
; %bb.1785:
	global_store_dword v[7:8], v0, off
.LBB18_1786:
	s_mov_b32 s1, 0
.LBB18_1787:
	s_andn2_b32 vcc_lo, exec_lo, s1
	s_cbranch_vccnz .LBB18_1789
; %bb.1788:
	v_cvt_f16_f32_e32 v1, v0
	global_store_short v[7:8], v1, off
.LBB18_1789:
	s_mov_b32 s1, 0
.LBB18_1790:
	s_andn2_b32 vcc_lo, exec_lo, s1
	s_cbranch_vccnz .LBB18_1806
; %bb.1791:
	s_cmp_lt_i32 s0, 2
	s_mov_b32 s1, -1
	s_cbranch_scc1 .LBB18_1801
; %bb.1792:
	s_cmp_lt_i32 s0, 3
	s_cbranch_scc1 .LBB18_1798
; %bb.1793:
	s_cmp_gt_i32 s0, 3
	s_cbranch_scc0 .LBB18_1795
; %bb.1794:
	v_trunc_f32_e32 v1, v0
	s_mov_b32 s1, 0
	v_mul_f32_e64 v5, 0x2f800000, |v1|
	v_floor_f32_e32 v5, v5
	v_fma_f32 v9, 0xcf800000, v5, |v1|
	v_ashrrev_i32_e32 v1, 31, v1
	v_cvt_u32_f32_e32 v5, v5
	v_cvt_u32_f32_e32 v9, v9
	v_xor_b32_e32 v5, v5, v1
	v_xor_b32_e32 v9, v9, v1
	v_sub_co_u32 v9, vcc_lo, v9, v1
	v_sub_co_ci_u32_e64 v10, null, v5, v1, vcc_lo
	global_store_dwordx2 v[7:8], v[9:10], off
.LBB18_1795:
	s_andn2_b32 vcc_lo, exec_lo, s1
	s_cbranch_vccnz .LBB18_1797
; %bb.1796:
	v_cvt_i32_f32_e32 v1, v0
	global_store_dword v[7:8], v1, off
.LBB18_1797:
	s_mov_b32 s1, 0
.LBB18_1798:
	s_andn2_b32 vcc_lo, exec_lo, s1
	s_cbranch_vccnz .LBB18_1800
; %bb.1799:
	v_cvt_i32_f32_e32 v1, v0
	global_store_short v[7:8], v1, off
.LBB18_1800:
	s_mov_b32 s1, 0
.LBB18_1801:
	s_andn2_b32 vcc_lo, exec_lo, s1
	s_cbranch_vccnz .LBB18_1806
; %bb.1802:
	s_cmp_gt_i32 s0, 0
	s_mov_b32 s0, -1
	s_cbranch_scc0 .LBB18_1804
; %bb.1803:
	v_cvt_i32_f32_e32 v1, v0
	s_mov_b32 s0, 0
	global_store_byte v[7:8], v1, off
.LBB18_1804:
	s_andn2_b32 vcc_lo, exec_lo, s0
	s_cbranch_vccnz .LBB18_1806
; %bb.1805:
	v_trunc_f32_e32 v0, v0
	v_mul_f32_e64 v1, 0x2f800000, |v0|
	v_floor_f32_e32 v1, v1
	v_fma_f32 v1, 0xcf800000, v1, |v0|
	v_ashrrev_i32_e32 v0, 31, v0
	v_cvt_u32_f32_e32 v1, v1
	v_xor_b32_e32 v1, v1, v0
	v_sub_nc_u32_e32 v0, v1, v0
	global_store_byte v[7:8], v0, off
.LBB18_1806:
	s_mov_b32 s5, -1
.LBB18_1807:
	s_andn2_b32 vcc_lo, exec_lo, s5
	s_cbranch_vccnz .LBB18_2122
; %bb.1808:
	s_lshl_b32 s1, s2, 7
	s_cmp_lt_i32 s12, 11
	v_add_nc_u32_e32 v5, s1, v3
	v_ashrrev_i32_e32 v1, 31, v5
	v_add_co_u32 v0, vcc_lo, s8, v5
	v_add_co_ci_u32_e64 v1, null, s9, v1, vcc_lo
	s_cbranch_scc1 .LBB18_1886
; %bb.1809:
	s_and_b32 s2, 0xffff, s12
	s_mov_b32 s10, -1
	s_mov_b32 s3, 0
	s_cmp_gt_i32 s2, 25
	s_mov_b32 s5, 0
	s_mov_b32 s0, 0
	s_cbranch_scc0 .LBB18_1842
; %bb.1810:
	s_cmp_gt_i32 s2, 28
	s_cbranch_scc0 .LBB18_1825
; %bb.1811:
	s_cmp_gt_i32 s2, 43
	;; [unrolled: 3-line block ×3, first 2 shown]
	s_cbranch_scc0 .LBB18_1815
; %bb.1813:
	s_mov_b32 s0, -1
	s_mov_b32 s10, 0
	s_cmp_eq_u32 s2, 46
	s_cbranch_scc0 .LBB18_1815
; %bb.1814:
	v_bfe_u32 v3, v2, 16, 1
	v_cmp_o_f32_e32 vcc_lo, v2, v2
	v_mov_b32_e32 v7, 0x7fc0
	s_mov_b32 s0, 0
	s_mov_b32 s5, -1
	v_add3_u32 v3, v2, v3, 0x7fff
	v_cndmask_b32_sdwa v3, v7, v3, vcc_lo dst_sel:DWORD dst_unused:UNUSED_PAD src0_sel:DWORD src1_sel:WORD_1
	global_store_dword v[0:1], v3, off
.LBB18_1815:
	s_and_b32 vcc_lo, exec_lo, s10
	s_cbranch_vccz .LBB18_1820
; %bb.1816:
	s_cmp_eq_u32 s2, 44
	s_mov_b32 s0, -1
	s_cbranch_scc0 .LBB18_1820
; %bb.1817:
	v_bfe_u32 v7, v2, 23, 8
	v_mov_b32_e32 v3, 0xff
	s_mov_b32 s5, exec_lo
	v_cmpx_ne_u32_e32 0xff, v7
	s_cbranch_execz .LBB18_1819
; %bb.1818:
	v_and_b32_e32 v3, 0x400000, v2
	v_and_or_b32 v7, 0x3fffff, v2, v7
	v_cmp_ne_u32_e32 vcc_lo, 0, v3
	v_cmp_ne_u32_e64 s0, 0, v7
	v_lshrrev_b32_e32 v3, 23, v2
	s_and_b32 s0, vcc_lo, s0
	v_cndmask_b32_e64 v7, 0, 1, s0
	v_add_nc_u32_e32 v3, v3, v7
.LBB18_1819:
	s_or_b32 exec_lo, exec_lo, s5
	s_mov_b32 s0, 0
	s_mov_b32 s5, -1
	global_store_byte v[0:1], v3, off
.LBB18_1820:
	s_mov_b32 s10, 0
.LBB18_1821:
	s_and_b32 vcc_lo, exec_lo, s10
	s_cbranch_vccz .LBB18_1824
; %bb.1822:
	s_cmp_eq_u32 s2, 29
	s_mov_b32 s0, -1
	s_cbranch_scc0 .LBB18_1824
; %bb.1823:
	v_trunc_f32_e32 v3, v2
	s_mov_b32 s0, 0
	s_mov_b32 s5, -1
	v_mul_f32_e32 v7, 0x2f800000, v3
	v_floor_f32_e32 v7, v7
	v_fmamk_f32 v3, v7, 0xcf800000, v3
	v_cvt_u32_f32_e32 v8, v7
	v_cvt_u32_f32_e32 v7, v3
	global_store_dwordx2 v[0:1], v[7:8], off
.LBB18_1824:
	s_mov_b32 s10, 0
.LBB18_1825:
	s_and_b32 vcc_lo, exec_lo, s10
	s_cbranch_vccz .LBB18_1841
; %bb.1826:
	s_cmp_lt_i32 s2, 27
	s_mov_b32 s5, -1
	s_cbranch_scc1 .LBB18_1832
; %bb.1827:
	v_cvt_u32_f32_e32 v3, v2
	s_cmp_gt_i32 s2, 27
	s_cbranch_scc0 .LBB18_1829
; %bb.1828:
	s_mov_b32 s5, 0
	global_store_dword v[0:1], v3, off
.LBB18_1829:
	s_andn2_b32 vcc_lo, exec_lo, s5
	s_cbranch_vccnz .LBB18_1831
; %bb.1830:
	global_store_short v[0:1], v3, off
.LBB18_1831:
	s_mov_b32 s5, 0
.LBB18_1832:
	s_andn2_b32 vcc_lo, exec_lo, s5
	s_cbranch_vccnz .LBB18_1840
; %bb.1833:
	v_and_b32_e32 v3, 0x7fffffff, v2
	v_mov_b32_e32 v7, 0x80
	s_mov_b32 s5, exec_lo
	v_cmpx_gt_u32_e32 0x43800000, v3
	s_cbranch_execz .LBB18_1839
; %bb.1834:
	v_cmp_lt_u32_e32 vcc_lo, 0x3bffffff, v3
	s_mov_b32 s10, 0
                                        ; implicit-def: $vgpr3
	s_and_saveexec_b32 s11, vcc_lo
	s_xor_b32 s11, exec_lo, s11
	s_cbranch_execz .LBB18_2130
; %bb.1835:
	v_bfe_u32 v3, v2, 20, 1
	s_mov_b32 s10, exec_lo
	v_add3_u32 v3, v2, v3, 0x487ffff
	v_lshrrev_b32_e32 v3, 20, v3
	s_andn2_saveexec_b32 s11, s11
	s_cbranch_execnz .LBB18_2131
.LBB18_1836:
	s_or_b32 exec_lo, exec_lo, s11
	v_mov_b32_e32 v7, 0
	s_and_saveexec_b32 s11, s10
.LBB18_1837:
	v_lshrrev_b32_e32 v7, 24, v2
	v_and_or_b32 v7, 0x80, v7, v3
.LBB18_1838:
	s_or_b32 exec_lo, exec_lo, s11
.LBB18_1839:
	s_or_b32 exec_lo, exec_lo, s5
	global_store_byte v[0:1], v7, off
.LBB18_1840:
	s_mov_b32 s5, -1
.LBB18_1841:
	s_mov_b32 s10, 0
.LBB18_1842:
	s_and_b32 vcc_lo, exec_lo, s10
	s_cbranch_vccz .LBB18_1882
; %bb.1843:
	s_cmp_gt_i32 s2, 22
	s_mov_b32 s3, -1
	s_cbranch_scc0 .LBB18_1875
; %bb.1844:
	s_cmp_lt_i32 s2, 24
	s_cbranch_scc1 .LBB18_1864
; %bb.1845:
	s_cmp_gt_i32 s2, 24
	s_cbranch_scc0 .LBB18_1853
; %bb.1846:
	v_and_b32_e32 v3, 0x7fffffff, v2
	v_mov_b32_e32 v7, 0x80
	s_mov_b32 s3, exec_lo
	v_cmpx_gt_u32_e32 0x47800000, v3
	s_cbranch_execz .LBB18_1852
; %bb.1847:
	v_cmp_lt_u32_e32 vcc_lo, 0x37ffffff, v3
	s_mov_b32 s5, 0
                                        ; implicit-def: $vgpr3
	s_and_saveexec_b32 s10, vcc_lo
	s_xor_b32 s10, exec_lo, s10
	s_cbranch_execz .LBB18_2133
; %bb.1848:
	v_bfe_u32 v3, v2, 21, 1
	s_mov_b32 s5, exec_lo
	v_add3_u32 v3, v2, v3, 0x88fffff
	v_lshrrev_b32_e32 v3, 21, v3
	s_andn2_saveexec_b32 s10, s10
	s_cbranch_execnz .LBB18_2134
.LBB18_1849:
	s_or_b32 exec_lo, exec_lo, s10
	v_mov_b32_e32 v7, 0
	s_and_saveexec_b32 s10, s5
.LBB18_1850:
	v_lshrrev_b32_e32 v7, 24, v2
	v_and_or_b32 v7, 0x80, v7, v3
.LBB18_1851:
	s_or_b32 exec_lo, exec_lo, s10
.LBB18_1852:
	s_or_b32 exec_lo, exec_lo, s3
	s_mov_b32 s3, 0
	global_store_byte v[0:1], v7, off
.LBB18_1853:
	s_and_b32 vcc_lo, exec_lo, s3
	s_cbranch_vccz .LBB18_1863
; %bb.1854:
	v_and_b32_e32 v7, 0x7fffffff, v2
	s_mov_b32 s3, exec_lo
                                        ; implicit-def: $vgpr3
	v_cmpx_gt_u32_e32 0x43f00000, v7
	s_xor_b32 s3, exec_lo, s3
	s_cbranch_execz .LBB18_1860
; %bb.1855:
	s_mov_b32 s5, exec_lo
                                        ; implicit-def: $vgpr3
	v_cmpx_lt_u32_e32 0x3c7fffff, v7
	s_xor_b32 s5, exec_lo, s5
; %bb.1856:
	v_bfe_u32 v3, v2, 20, 1
	v_add3_u32 v3, v2, v3, 0x407ffff
	v_and_b32_e32 v7, 0xff00000, v3
	v_lshrrev_b32_e32 v3, 20, v3
	v_cmp_ne_u32_e32 vcc_lo, 0x7f00000, v7
	v_cndmask_b32_e32 v3, 0x7e, v3, vcc_lo
; %bb.1857:
	s_andn2_saveexec_b32 s5, s5
; %bb.1858:
	v_add_f32_e64 v3, 0x46800000, |v2|
; %bb.1859:
	s_or_b32 exec_lo, exec_lo, s5
                                        ; implicit-def: $vgpr7
.LBB18_1860:
	s_andn2_saveexec_b32 s3, s3
; %bb.1861:
	v_mov_b32_e32 v3, 0x7f
	v_cmp_lt_u32_e32 vcc_lo, 0x7f800000, v7
	v_cndmask_b32_e32 v3, 0x7e, v3, vcc_lo
; %bb.1862:
	s_or_b32 exec_lo, exec_lo, s3
	v_lshrrev_b32_e32 v7, 24, v2
	v_and_or_b32 v3, 0x80, v7, v3
	global_store_byte v[0:1], v3, off
.LBB18_1863:
	s_mov_b32 s3, 0
.LBB18_1864:
	s_andn2_b32 vcc_lo, exec_lo, s3
	s_cbranch_vccnz .LBB18_1874
; %bb.1865:
	v_and_b32_e32 v7, 0x7fffffff, v2
	s_mov_b32 s3, exec_lo
                                        ; implicit-def: $vgpr3
	v_cmpx_gt_u32_e32 0x47800000, v7
	s_xor_b32 s3, exec_lo, s3
	s_cbranch_execz .LBB18_1871
; %bb.1866:
	s_mov_b32 s5, exec_lo
                                        ; implicit-def: $vgpr3
	v_cmpx_lt_u32_e32 0x387fffff, v7
	s_xor_b32 s5, exec_lo, s5
; %bb.1867:
	v_bfe_u32 v3, v2, 21, 1
	v_add3_u32 v3, v2, v3, 0x80fffff
	v_lshrrev_b32_e32 v3, 21, v3
; %bb.1868:
	s_andn2_saveexec_b32 s5, s5
; %bb.1869:
	v_add_f32_e64 v3, 0x43000000, |v2|
; %bb.1870:
	s_or_b32 exec_lo, exec_lo, s5
                                        ; implicit-def: $vgpr7
.LBB18_1871:
	s_andn2_saveexec_b32 s3, s3
; %bb.1872:
	v_mov_b32_e32 v3, 0x7f
	v_cmp_lt_u32_e32 vcc_lo, 0x7f800000, v7
	v_cndmask_b32_e32 v3, 0x7c, v3, vcc_lo
; %bb.1873:
	s_or_b32 exec_lo, exec_lo, s3
	v_lshrrev_b32_e32 v7, 24, v2
	v_and_or_b32 v3, 0x80, v7, v3
	global_store_byte v[0:1], v3, off
.LBB18_1874:
	s_mov_b32 s3, 0
	s_mov_b32 s5, -1
.LBB18_1875:
	s_andn2_b32 vcc_lo, exec_lo, s3
	s_mov_b32 s3, 0
	s_cbranch_vccnz .LBB18_1882
; %bb.1876:
	s_cmp_gt_i32 s2, 14
	s_mov_b32 s3, -1
	s_cbranch_scc0 .LBB18_1880
; %bb.1877:
	s_cmp_eq_u32 s2, 15
	s_mov_b32 s0, -1
	s_cbranch_scc0 .LBB18_1879
; %bb.1878:
	v_bfe_u32 v3, v2, 16, 1
	v_cmp_o_f32_e32 vcc_lo, v2, v2
	v_mov_b32_e32 v7, 0x7fc0
	s_mov_b32 s0, 0
	s_mov_b32 s5, -1
	v_add3_u32 v3, v2, v3, 0x7fff
	v_cndmask_b32_sdwa v3, v7, v3, vcc_lo dst_sel:DWORD dst_unused:UNUSED_PAD src0_sel:DWORD src1_sel:WORD_1
	global_store_short v[0:1], v3, off
.LBB18_1879:
	s_mov_b32 s3, 0
.LBB18_1880:
	s_and_b32 vcc_lo, exec_lo, s3
	s_mov_b32 s3, 0
	s_cbranch_vccz .LBB18_1882
; %bb.1881:
	s_cmp_lg_u32 s2, 11
	s_mov_b32 s3, -1
	s_cselect_b32 s0, -1, 0
.LBB18_1882:
	s_and_b32 vcc_lo, exec_lo, s0
	s_cbranch_vccnz .LBB18_2132
; %bb.1883:
	s_andn2_b32 vcc_lo, exec_lo, s3
	s_cbranch_vccnz .LBB18_1885
.LBB18_1884:
	v_cmp_neq_f32_e32 vcc_lo, 0, v2
	s_mov_b32 s5, -1
	v_cndmask_b32_e64 v3, 0, 1, vcc_lo
	global_store_byte v[0:1], v3, off
.LBB18_1885:
	s_mov_b32 s0, 0
	s_branch .LBB18_1887
.LBB18_1886:
	s_mov_b32 s0, -1
	s_mov_b32 s5, 0
.LBB18_1887:
	s_and_b32 vcc_lo, exec_lo, s0
	s_cbranch_vccz .LBB18_1926
; %bb.1888:
	s_and_b32 s0, 0xffff, s12
	s_mov_b32 s2, -1
	s_cmp_lt_i32 s0, 5
	s_cbranch_scc1 .LBB18_1909
; %bb.1889:
	s_cmp_lt_i32 s0, 8
	s_cbranch_scc1 .LBB18_1899
; %bb.1890:
	;; [unrolled: 3-line block ×3, first 2 shown]
	s_cmp_gt_i32 s0, 9
	s_cbranch_scc0 .LBB18_1893
; %bb.1892:
	v_cvt_f64_f32_e32 v[7:8], v2
	v_mov_b32_e32 v9, 0
	s_mov_b32 s2, 0
	v_mov_b32_e32 v10, v9
	global_store_dwordx4 v[0:1], v[7:10], off
.LBB18_1893:
	s_andn2_b32 vcc_lo, exec_lo, s2
	s_cbranch_vccnz .LBB18_1895
; %bb.1894:
	v_mov_b32_e32 v3, 0
	global_store_dwordx2 v[0:1], v[2:3], off
.LBB18_1895:
	s_mov_b32 s2, 0
.LBB18_1896:
	s_andn2_b32 vcc_lo, exec_lo, s2
	s_cbranch_vccnz .LBB18_1898
; %bb.1897:
	v_cvt_f16_f32_e32 v3, v2
	v_and_b32_e32 v3, 0xffff, v3
	global_store_dword v[0:1], v3, off
.LBB18_1898:
	s_mov_b32 s2, 0
.LBB18_1899:
	s_andn2_b32 vcc_lo, exec_lo, s2
	s_cbranch_vccnz .LBB18_1908
; %bb.1900:
	s_cmp_lt_i32 s0, 6
	s_mov_b32 s2, -1
	s_cbranch_scc1 .LBB18_1906
; %bb.1901:
	s_cmp_gt_i32 s0, 6
	s_cbranch_scc0 .LBB18_1903
; %bb.1902:
	v_cvt_f64_f32_e32 v[7:8], v2
	s_mov_b32 s2, 0
	global_store_dwordx2 v[0:1], v[7:8], off
.LBB18_1903:
	s_andn2_b32 vcc_lo, exec_lo, s2
	s_cbranch_vccnz .LBB18_1905
; %bb.1904:
	global_store_dword v[0:1], v2, off
.LBB18_1905:
	s_mov_b32 s2, 0
.LBB18_1906:
	s_andn2_b32 vcc_lo, exec_lo, s2
	s_cbranch_vccnz .LBB18_1908
; %bb.1907:
	v_cvt_f16_f32_e32 v3, v2
	global_store_short v[0:1], v3, off
.LBB18_1908:
	s_mov_b32 s2, 0
.LBB18_1909:
	s_andn2_b32 vcc_lo, exec_lo, s2
	s_cbranch_vccnz .LBB18_1925
; %bb.1910:
	s_cmp_lt_i32 s0, 2
	s_mov_b32 s2, -1
	s_cbranch_scc1 .LBB18_1920
; %bb.1911:
	s_cmp_lt_i32 s0, 3
	s_cbranch_scc1 .LBB18_1917
; %bb.1912:
	s_cmp_gt_i32 s0, 3
	s_cbranch_scc0 .LBB18_1914
; %bb.1913:
	v_trunc_f32_e32 v3, v2
	s_mov_b32 s2, 0
	v_mul_f32_e64 v7, 0x2f800000, |v3|
	v_floor_f32_e32 v7, v7
	v_fma_f32 v8, 0xcf800000, v7, |v3|
	v_ashrrev_i32_e32 v3, 31, v3
	v_cvt_u32_f32_e32 v7, v7
	v_cvt_u32_f32_e32 v8, v8
	v_xor_b32_e32 v9, v7, v3
	v_xor_b32_e32 v8, v8, v3
	v_sub_co_u32 v7, vcc_lo, v8, v3
	v_sub_co_ci_u32_e64 v8, null, v9, v3, vcc_lo
	global_store_dwordx2 v[0:1], v[7:8], off
.LBB18_1914:
	s_andn2_b32 vcc_lo, exec_lo, s2
	s_cbranch_vccnz .LBB18_1916
; %bb.1915:
	v_cvt_i32_f32_e32 v3, v2
	global_store_dword v[0:1], v3, off
.LBB18_1916:
	s_mov_b32 s2, 0
.LBB18_1917:
	s_andn2_b32 vcc_lo, exec_lo, s2
	s_cbranch_vccnz .LBB18_1919
; %bb.1918:
	v_cvt_i32_f32_e32 v3, v2
	global_store_short v[0:1], v3, off
.LBB18_1919:
	s_mov_b32 s2, 0
.LBB18_1920:
	s_andn2_b32 vcc_lo, exec_lo, s2
	s_cbranch_vccnz .LBB18_1925
; %bb.1921:
	s_cmp_gt_i32 s0, 0
	s_mov_b32 s0, -1
	s_cbranch_scc0 .LBB18_1923
; %bb.1922:
	v_cvt_i32_f32_e32 v3, v2
	s_mov_b32 s0, 0
	global_store_byte v[0:1], v3, off
.LBB18_1923:
	s_andn2_b32 vcc_lo, exec_lo, s0
	s_cbranch_vccnz .LBB18_1925
; %bb.1924:
	v_trunc_f32_e32 v2, v2
	v_mul_f32_e64 v3, 0x2f800000, |v2|
	v_floor_f32_e32 v3, v3
	v_fma_f32 v3, 0xcf800000, v3, |v2|
	v_ashrrev_i32_e32 v2, 31, v2
	v_cvt_u32_f32_e32 v3, v3
	v_xor_b32_e32 v3, v3, v2
	v_sub_nc_u32_e32 v2, v3, v2
	global_store_byte v[0:1], v2, off
.LBB18_1925:
	s_mov_b32 s5, -1
.LBB18_1926:
	s_andn2_b32 vcc_lo, exec_lo, s5
	s_cbranch_vccnz .LBB18_2122
; %bb.1927:
	v_add_nc_u32_e32 v2, s1, v5
	s_cmp_lt_i32 s12, 11
	v_ashrrev_i32_e32 v1, 31, v2
	v_add_co_u32 v0, vcc_lo, s8, v2
	v_add_co_ci_u32_e64 v1, null, s9, v1, vcc_lo
	s_cbranch_scc1 .LBB18_2005
; %bb.1928:
	s_and_b32 s2, 0xffff, s12
	s_mov_b32 s10, -1
	s_mov_b32 s3, 0
	s_cmp_gt_i32 s2, 25
	s_mov_b32 s5, 0
	s_mov_b32 s0, 0
	s_cbranch_scc0 .LBB18_1961
; %bb.1929:
	s_cmp_gt_i32 s2, 28
	s_cbranch_scc0 .LBB18_1944
; %bb.1930:
	s_cmp_gt_i32 s2, 43
	;; [unrolled: 3-line block ×3, first 2 shown]
	s_cbranch_scc0 .LBB18_1934
; %bb.1932:
	s_mov_b32 s0, -1
	s_mov_b32 s10, 0
	s_cmp_eq_u32 s2, 46
	s_cbranch_scc0 .LBB18_1934
; %bb.1933:
	v_bfe_u32 v3, v4, 16, 1
	v_cmp_o_f32_e32 vcc_lo, v4, v4
	v_mov_b32_e32 v5, 0x7fc0
	s_mov_b32 s0, 0
	s_mov_b32 s5, -1
	v_add3_u32 v3, v4, v3, 0x7fff
	v_cndmask_b32_sdwa v3, v5, v3, vcc_lo dst_sel:DWORD dst_unused:UNUSED_PAD src0_sel:DWORD src1_sel:WORD_1
	global_store_dword v[0:1], v3, off
.LBB18_1934:
	s_and_b32 vcc_lo, exec_lo, s10
	s_cbranch_vccz .LBB18_1939
; %bb.1935:
	s_cmp_eq_u32 s2, 44
	s_mov_b32 s0, -1
	s_cbranch_scc0 .LBB18_1939
; %bb.1936:
	v_bfe_u32 v5, v4, 23, 8
	v_mov_b32_e32 v3, 0xff
	s_mov_b32 s5, exec_lo
	v_cmpx_ne_u32_e32 0xff, v5
	s_cbranch_execz .LBB18_1938
; %bb.1937:
	v_and_b32_e32 v3, 0x400000, v4
	v_and_or_b32 v5, 0x3fffff, v4, v5
	v_cmp_ne_u32_e32 vcc_lo, 0, v3
	v_cmp_ne_u32_e64 s0, 0, v5
	v_lshrrev_b32_e32 v3, 23, v4
	s_and_b32 s0, vcc_lo, s0
	v_cndmask_b32_e64 v5, 0, 1, s0
	v_add_nc_u32_e32 v3, v3, v5
.LBB18_1938:
	s_or_b32 exec_lo, exec_lo, s5
	s_mov_b32 s0, 0
	s_mov_b32 s5, -1
	global_store_byte v[0:1], v3, off
.LBB18_1939:
	s_mov_b32 s10, 0
.LBB18_1940:
	s_and_b32 vcc_lo, exec_lo, s10
	s_cbranch_vccz .LBB18_1943
; %bb.1941:
	s_cmp_eq_u32 s2, 29
	s_mov_b32 s0, -1
	s_cbranch_scc0 .LBB18_1943
; %bb.1942:
	v_trunc_f32_e32 v3, v4
	s_mov_b32 s0, 0
	s_mov_b32 s5, -1
	v_mul_f32_e32 v5, 0x2f800000, v3
	v_floor_f32_e32 v5, v5
	v_fmamk_f32 v3, v5, 0xcf800000, v3
	v_cvt_u32_f32_e32 v8, v5
	v_cvt_u32_f32_e32 v7, v3
	global_store_dwordx2 v[0:1], v[7:8], off
.LBB18_1943:
	s_mov_b32 s10, 0
.LBB18_1944:
	s_and_b32 vcc_lo, exec_lo, s10
	s_cbranch_vccz .LBB18_1960
; %bb.1945:
	s_cmp_lt_i32 s2, 27
	s_mov_b32 s5, -1
	s_cbranch_scc1 .LBB18_1951
; %bb.1946:
	v_cvt_u32_f32_e32 v3, v4
	s_cmp_gt_i32 s2, 27
	s_cbranch_scc0 .LBB18_1948
; %bb.1947:
	s_mov_b32 s5, 0
	global_store_dword v[0:1], v3, off
.LBB18_1948:
	s_andn2_b32 vcc_lo, exec_lo, s5
	s_cbranch_vccnz .LBB18_1950
; %bb.1949:
	global_store_short v[0:1], v3, off
.LBB18_1950:
	s_mov_b32 s5, 0
.LBB18_1951:
	s_andn2_b32 vcc_lo, exec_lo, s5
	s_cbranch_vccnz .LBB18_1959
; %bb.1952:
	v_and_b32_e32 v3, 0x7fffffff, v4
	v_mov_b32_e32 v5, 0x80
	s_mov_b32 s5, exec_lo
	v_cmpx_gt_u32_e32 0x43800000, v3
	s_cbranch_execz .LBB18_1958
; %bb.1953:
	v_cmp_lt_u32_e32 vcc_lo, 0x3bffffff, v3
	s_mov_b32 s10, 0
                                        ; implicit-def: $vgpr3
	s_and_saveexec_b32 s11, vcc_lo
	s_xor_b32 s11, exec_lo, s11
	s_cbranch_execz .LBB18_2135
; %bb.1954:
	v_bfe_u32 v3, v4, 20, 1
	s_mov_b32 s10, exec_lo
	v_add3_u32 v3, v4, v3, 0x487ffff
	v_lshrrev_b32_e32 v3, 20, v3
	s_andn2_saveexec_b32 s11, s11
	s_cbranch_execnz .LBB18_2136
.LBB18_1955:
	s_or_b32 exec_lo, exec_lo, s11
	v_mov_b32_e32 v5, 0
	s_and_saveexec_b32 s11, s10
.LBB18_1956:
	v_lshrrev_b32_e32 v5, 24, v4
	v_and_or_b32 v5, 0x80, v5, v3
.LBB18_1957:
	s_or_b32 exec_lo, exec_lo, s11
.LBB18_1958:
	s_or_b32 exec_lo, exec_lo, s5
	global_store_byte v[0:1], v5, off
.LBB18_1959:
	s_mov_b32 s5, -1
.LBB18_1960:
	s_mov_b32 s10, 0
.LBB18_1961:
	s_and_b32 vcc_lo, exec_lo, s10
	s_cbranch_vccz .LBB18_2001
; %bb.1962:
	s_cmp_gt_i32 s2, 22
	s_mov_b32 s3, -1
	s_cbranch_scc0 .LBB18_1994
; %bb.1963:
	s_cmp_lt_i32 s2, 24
	s_cbranch_scc1 .LBB18_1983
; %bb.1964:
	s_cmp_gt_i32 s2, 24
	s_cbranch_scc0 .LBB18_1972
; %bb.1965:
	v_and_b32_e32 v3, 0x7fffffff, v4
	v_mov_b32_e32 v5, 0x80
	s_mov_b32 s3, exec_lo
	v_cmpx_gt_u32_e32 0x47800000, v3
	s_cbranch_execz .LBB18_1971
; %bb.1966:
	v_cmp_lt_u32_e32 vcc_lo, 0x37ffffff, v3
	s_mov_b32 s5, 0
                                        ; implicit-def: $vgpr3
	s_and_saveexec_b32 s10, vcc_lo
	s_xor_b32 s10, exec_lo, s10
	s_cbranch_execz .LBB18_2138
; %bb.1967:
	v_bfe_u32 v3, v4, 21, 1
	s_mov_b32 s5, exec_lo
	v_add3_u32 v3, v4, v3, 0x88fffff
	v_lshrrev_b32_e32 v3, 21, v3
	s_andn2_saveexec_b32 s10, s10
	s_cbranch_execnz .LBB18_2139
.LBB18_1968:
	s_or_b32 exec_lo, exec_lo, s10
	v_mov_b32_e32 v5, 0
	s_and_saveexec_b32 s10, s5
.LBB18_1969:
	v_lshrrev_b32_e32 v5, 24, v4
	v_and_or_b32 v5, 0x80, v5, v3
.LBB18_1970:
	s_or_b32 exec_lo, exec_lo, s10
.LBB18_1971:
	s_or_b32 exec_lo, exec_lo, s3
	s_mov_b32 s3, 0
	global_store_byte v[0:1], v5, off
.LBB18_1972:
	s_and_b32 vcc_lo, exec_lo, s3
	s_cbranch_vccz .LBB18_1982
; %bb.1973:
	v_and_b32_e32 v5, 0x7fffffff, v4
	s_mov_b32 s3, exec_lo
                                        ; implicit-def: $vgpr3
	v_cmpx_gt_u32_e32 0x43f00000, v5
	s_xor_b32 s3, exec_lo, s3
	s_cbranch_execz .LBB18_1979
; %bb.1974:
	s_mov_b32 s5, exec_lo
                                        ; implicit-def: $vgpr3
	v_cmpx_lt_u32_e32 0x3c7fffff, v5
	s_xor_b32 s5, exec_lo, s5
; %bb.1975:
	v_bfe_u32 v3, v4, 20, 1
	v_add3_u32 v3, v4, v3, 0x407ffff
	v_and_b32_e32 v5, 0xff00000, v3
	v_lshrrev_b32_e32 v3, 20, v3
	v_cmp_ne_u32_e32 vcc_lo, 0x7f00000, v5
	v_cndmask_b32_e32 v3, 0x7e, v3, vcc_lo
; %bb.1976:
	s_andn2_saveexec_b32 s5, s5
; %bb.1977:
	v_add_f32_e64 v3, 0x46800000, |v4|
; %bb.1978:
	s_or_b32 exec_lo, exec_lo, s5
                                        ; implicit-def: $vgpr5
.LBB18_1979:
	s_andn2_saveexec_b32 s3, s3
; %bb.1980:
	v_mov_b32_e32 v3, 0x7f
	v_cmp_lt_u32_e32 vcc_lo, 0x7f800000, v5
	v_cndmask_b32_e32 v3, 0x7e, v3, vcc_lo
; %bb.1981:
	s_or_b32 exec_lo, exec_lo, s3
	v_lshrrev_b32_e32 v5, 24, v4
	v_and_or_b32 v3, 0x80, v5, v3
	global_store_byte v[0:1], v3, off
.LBB18_1982:
	s_mov_b32 s3, 0
.LBB18_1983:
	s_andn2_b32 vcc_lo, exec_lo, s3
	s_cbranch_vccnz .LBB18_1993
; %bb.1984:
	v_and_b32_e32 v5, 0x7fffffff, v4
	s_mov_b32 s3, exec_lo
                                        ; implicit-def: $vgpr3
	v_cmpx_gt_u32_e32 0x47800000, v5
	s_xor_b32 s3, exec_lo, s3
	s_cbranch_execz .LBB18_1990
; %bb.1985:
	s_mov_b32 s5, exec_lo
                                        ; implicit-def: $vgpr3
	v_cmpx_lt_u32_e32 0x387fffff, v5
	s_xor_b32 s5, exec_lo, s5
; %bb.1986:
	v_bfe_u32 v3, v4, 21, 1
	v_add3_u32 v3, v4, v3, 0x80fffff
	v_lshrrev_b32_e32 v3, 21, v3
; %bb.1987:
	s_andn2_saveexec_b32 s5, s5
; %bb.1988:
	v_add_f32_e64 v3, 0x43000000, |v4|
; %bb.1989:
	s_or_b32 exec_lo, exec_lo, s5
                                        ; implicit-def: $vgpr5
.LBB18_1990:
	s_andn2_saveexec_b32 s3, s3
; %bb.1991:
	v_mov_b32_e32 v3, 0x7f
	v_cmp_lt_u32_e32 vcc_lo, 0x7f800000, v5
	v_cndmask_b32_e32 v3, 0x7c, v3, vcc_lo
; %bb.1992:
	s_or_b32 exec_lo, exec_lo, s3
	v_lshrrev_b32_e32 v5, 24, v4
	v_and_or_b32 v3, 0x80, v5, v3
	global_store_byte v[0:1], v3, off
.LBB18_1993:
	s_mov_b32 s3, 0
	s_mov_b32 s5, -1
.LBB18_1994:
	s_andn2_b32 vcc_lo, exec_lo, s3
	s_mov_b32 s3, 0
	s_cbranch_vccnz .LBB18_2001
; %bb.1995:
	s_cmp_gt_i32 s2, 14
	s_mov_b32 s3, -1
	s_cbranch_scc0 .LBB18_1999
; %bb.1996:
	s_cmp_eq_u32 s2, 15
	s_mov_b32 s0, -1
	s_cbranch_scc0 .LBB18_1998
; %bb.1997:
	v_bfe_u32 v3, v4, 16, 1
	v_cmp_o_f32_e32 vcc_lo, v4, v4
	v_mov_b32_e32 v5, 0x7fc0
	s_mov_b32 s0, 0
	s_mov_b32 s5, -1
	v_add3_u32 v3, v4, v3, 0x7fff
	v_cndmask_b32_sdwa v3, v5, v3, vcc_lo dst_sel:DWORD dst_unused:UNUSED_PAD src0_sel:DWORD src1_sel:WORD_1
	global_store_short v[0:1], v3, off
.LBB18_1998:
	s_mov_b32 s3, 0
.LBB18_1999:
	s_and_b32 vcc_lo, exec_lo, s3
	s_mov_b32 s3, 0
	s_cbranch_vccz .LBB18_2001
; %bb.2000:
	s_cmp_lg_u32 s2, 11
	s_mov_b32 s3, -1
	s_cselect_b32 s0, -1, 0
.LBB18_2001:
	s_and_b32 vcc_lo, exec_lo, s0
	s_cbranch_vccnz .LBB18_2137
; %bb.2002:
	s_andn2_b32 vcc_lo, exec_lo, s3
	s_cbranch_vccnz .LBB18_2004
.LBB18_2003:
	v_cmp_neq_f32_e32 vcc_lo, 0, v4
	s_mov_b32 s5, -1
	v_cndmask_b32_e64 v3, 0, 1, vcc_lo
	global_store_byte v[0:1], v3, off
.LBB18_2004:
	s_mov_b32 s0, 0
	s_branch .LBB18_2006
.LBB18_2005:
	s_mov_b32 s0, -1
	s_mov_b32 s5, 0
.LBB18_2006:
	s_and_b32 vcc_lo, exec_lo, s0
	s_cbranch_vccz .LBB18_2045
; %bb.2007:
	s_and_b32 s0, 0xffff, s12
	s_mov_b32 s2, -1
	s_cmp_lt_i32 s0, 5
	s_cbranch_scc1 .LBB18_2028
; %bb.2008:
	s_cmp_lt_i32 s0, 8
	s_cbranch_scc1 .LBB18_2018
; %bb.2009:
	;; [unrolled: 3-line block ×3, first 2 shown]
	s_cmp_gt_i32 s0, 9
	s_cbranch_scc0 .LBB18_2012
; %bb.2011:
	v_cvt_f64_f32_e32 v[7:8], v4
	v_mov_b32_e32 v9, 0
	s_mov_b32 s2, 0
	v_mov_b32_e32 v10, v9
	global_store_dwordx4 v[0:1], v[7:10], off
.LBB18_2012:
	s_andn2_b32 vcc_lo, exec_lo, s2
	s_cbranch_vccnz .LBB18_2014
; %bb.2013:
	v_mov_b32_e32 v5, 0
	global_store_dwordx2 v[0:1], v[4:5], off
.LBB18_2014:
	s_mov_b32 s2, 0
.LBB18_2015:
	s_andn2_b32 vcc_lo, exec_lo, s2
	s_cbranch_vccnz .LBB18_2017
; %bb.2016:
	v_cvt_f16_f32_e32 v3, v4
	v_and_b32_e32 v3, 0xffff, v3
	global_store_dword v[0:1], v3, off
.LBB18_2017:
	s_mov_b32 s2, 0
.LBB18_2018:
	s_andn2_b32 vcc_lo, exec_lo, s2
	s_cbranch_vccnz .LBB18_2027
; %bb.2019:
	s_cmp_lt_i32 s0, 6
	s_mov_b32 s2, -1
	s_cbranch_scc1 .LBB18_2025
; %bb.2020:
	s_cmp_gt_i32 s0, 6
	s_cbranch_scc0 .LBB18_2022
; %bb.2021:
	v_cvt_f64_f32_e32 v[7:8], v4
	s_mov_b32 s2, 0
	global_store_dwordx2 v[0:1], v[7:8], off
.LBB18_2022:
	s_andn2_b32 vcc_lo, exec_lo, s2
	s_cbranch_vccnz .LBB18_2024
; %bb.2023:
	global_store_dword v[0:1], v4, off
.LBB18_2024:
	s_mov_b32 s2, 0
.LBB18_2025:
	s_andn2_b32 vcc_lo, exec_lo, s2
	s_cbranch_vccnz .LBB18_2027
; %bb.2026:
	v_cvt_f16_f32_e32 v3, v4
	global_store_short v[0:1], v3, off
.LBB18_2027:
	s_mov_b32 s2, 0
.LBB18_2028:
	s_andn2_b32 vcc_lo, exec_lo, s2
	s_cbranch_vccnz .LBB18_2044
; %bb.2029:
	s_cmp_lt_i32 s0, 2
	s_mov_b32 s2, -1
	s_cbranch_scc1 .LBB18_2039
; %bb.2030:
	s_cmp_lt_i32 s0, 3
	s_cbranch_scc1 .LBB18_2036
; %bb.2031:
	s_cmp_gt_i32 s0, 3
	s_cbranch_scc0 .LBB18_2033
; %bb.2032:
	v_trunc_f32_e32 v3, v4
	s_mov_b32 s2, 0
	v_mul_f32_e64 v5, 0x2f800000, |v3|
	v_floor_f32_e32 v5, v5
	v_fma_f32 v7, 0xcf800000, v5, |v3|
	v_ashrrev_i32_e32 v3, 31, v3
	v_cvt_u32_f32_e32 v5, v5
	v_cvt_u32_f32_e32 v7, v7
	v_xor_b32_e32 v5, v5, v3
	v_xor_b32_e32 v7, v7, v3
	v_sub_co_u32 v7, vcc_lo, v7, v3
	v_sub_co_ci_u32_e64 v8, null, v5, v3, vcc_lo
	global_store_dwordx2 v[0:1], v[7:8], off
.LBB18_2033:
	s_andn2_b32 vcc_lo, exec_lo, s2
	s_cbranch_vccnz .LBB18_2035
; %bb.2034:
	v_cvt_i32_f32_e32 v3, v4
	global_store_dword v[0:1], v3, off
.LBB18_2035:
	s_mov_b32 s2, 0
.LBB18_2036:
	s_andn2_b32 vcc_lo, exec_lo, s2
	s_cbranch_vccnz .LBB18_2038
; %bb.2037:
	v_cvt_i32_f32_e32 v3, v4
	global_store_short v[0:1], v3, off
.LBB18_2038:
	s_mov_b32 s2, 0
.LBB18_2039:
	s_andn2_b32 vcc_lo, exec_lo, s2
	s_cbranch_vccnz .LBB18_2044
; %bb.2040:
	s_cmp_gt_i32 s0, 0
	s_mov_b32 s0, -1
	s_cbranch_scc0 .LBB18_2042
; %bb.2041:
	v_cvt_i32_f32_e32 v3, v4
	s_mov_b32 s0, 0
	global_store_byte v[0:1], v3, off
.LBB18_2042:
	s_andn2_b32 vcc_lo, exec_lo, s0
	s_cbranch_vccnz .LBB18_2044
; %bb.2043:
	v_trunc_f32_e32 v3, v4
	v_mul_f32_e64 v4, 0x2f800000, |v3|
	v_floor_f32_e32 v4, v4
	v_fma_f32 v4, 0xcf800000, v4, |v3|
	v_ashrrev_i32_e32 v3, 31, v3
	v_cvt_u32_f32_e32 v4, v4
	v_xor_b32_e32 v4, v4, v3
	v_sub_nc_u32_e32 v3, v4, v3
	global_store_byte v[0:1], v3, off
.LBB18_2044:
	s_mov_b32 s5, -1
.LBB18_2045:
	s_andn2_b32 vcc_lo, exec_lo, s5
	s_cbranch_vccnz .LBB18_2122
; %bb.2046:
	v_add_nc_u32_e32 v0, s1, v2
	s_cmp_lt_i32 s12, 11
	v_ashrrev_i32_e32 v1, 31, v0
	v_add_co_u32 v0, vcc_lo, s8, v0
	v_add_co_ci_u32_e64 v1, null, s9, v1, vcc_lo
	s_cbranch_scc1 .LBB18_2123
; %bb.2047:
	s_and_b32 s1, 0xffff, s12
	s_mov_b32 s3, -1
	s_mov_b32 s2, 0
	s_cmp_gt_i32 s1, 25
	s_mov_b32 s0, 0
	s_cbranch_scc0 .LBB18_2080
; %bb.2048:
	s_cmp_gt_i32 s1, 28
	s_cbranch_scc0 .LBB18_2064
; %bb.2049:
	s_cmp_gt_i32 s1, 43
	;; [unrolled: 3-line block ×3, first 2 shown]
	s_cbranch_scc0 .LBB18_2054
; %bb.2051:
	s_cmp_eq_u32 s1, 46
	s_mov_b32 s0, -1
	s_cbranch_scc0 .LBB18_2053
; %bb.2052:
	v_bfe_u32 v2, v6, 16, 1
	v_cmp_o_f32_e32 vcc_lo, v6, v6
	v_mov_b32_e32 v3, 0x7fc0
	s_mov_b32 s0, 0
	v_add3_u32 v2, v6, v2, 0x7fff
	v_cndmask_b32_sdwa v2, v3, v2, vcc_lo dst_sel:DWORD dst_unused:UNUSED_PAD src0_sel:DWORD src1_sel:WORD_1
	global_store_dword v[0:1], v2, off
.LBB18_2053:
	s_mov_b32 s3, 0
.LBB18_2054:
	s_and_b32 vcc_lo, exec_lo, s3
	s_cbranch_vccz .LBB18_2059
; %bb.2055:
	s_cmp_eq_u32 s1, 44
	s_mov_b32 s0, -1
	s_cbranch_scc0 .LBB18_2059
; %bb.2056:
	v_bfe_u32 v3, v6, 23, 8
	v_mov_b32_e32 v2, 0xff
	s_mov_b32 s3, exec_lo
	v_cmpx_ne_u32_e32 0xff, v3
	s_cbranch_execz .LBB18_2058
; %bb.2057:
	v_and_b32_e32 v2, 0x400000, v6
	v_and_or_b32 v3, 0x3fffff, v6, v3
	v_cmp_ne_u32_e32 vcc_lo, 0, v2
	v_cmp_ne_u32_e64 s0, 0, v3
	v_lshrrev_b32_e32 v2, 23, v6
	s_and_b32 s0, vcc_lo, s0
	v_cndmask_b32_e64 v3, 0, 1, s0
	v_add_nc_u32_e32 v2, v2, v3
.LBB18_2058:
	s_or_b32 exec_lo, exec_lo, s3
	s_mov_b32 s0, 0
	global_store_byte v[0:1], v2, off
.LBB18_2059:
	s_mov_b32 s3, 0
.LBB18_2060:
	s_and_b32 vcc_lo, exec_lo, s3
	s_cbranch_vccz .LBB18_2063
; %bb.2061:
	s_cmp_eq_u32 s1, 29
	s_mov_b32 s0, -1
	s_cbranch_scc0 .LBB18_2063
; %bb.2062:
	v_trunc_f32_e32 v2, v6
	s_mov_b32 s0, 0
	v_mul_f32_e32 v3, 0x2f800000, v2
	v_floor_f32_e32 v3, v3
	v_fmamk_f32 v2, v3, 0xcf800000, v2
	v_cvt_u32_f32_e32 v3, v3
	v_cvt_u32_f32_e32 v2, v2
	global_store_dwordx2 v[0:1], v[2:3], off
.LBB18_2063:
	s_mov_b32 s3, 0
.LBB18_2064:
	s_and_b32 vcc_lo, exec_lo, s3
	s_cbranch_vccz .LBB18_2079
; %bb.2065:
	s_cmp_lt_i32 s1, 27
	s_mov_b32 s3, -1
	s_cbranch_scc1 .LBB18_2071
; %bb.2066:
	v_cvt_u32_f32_e32 v2, v6
	s_cmp_gt_i32 s1, 27
	s_cbranch_scc0 .LBB18_2068
; %bb.2067:
	s_mov_b32 s3, 0
	global_store_dword v[0:1], v2, off
.LBB18_2068:
	s_andn2_b32 vcc_lo, exec_lo, s3
	s_cbranch_vccnz .LBB18_2070
; %bb.2069:
	global_store_short v[0:1], v2, off
.LBB18_2070:
	s_mov_b32 s3, 0
.LBB18_2071:
	s_andn2_b32 vcc_lo, exec_lo, s3
	s_cbranch_vccnz .LBB18_2079
; %bb.2072:
	v_and_b32_e32 v2, 0x7fffffff, v6
	v_mov_b32_e32 v3, 0x80
	s_mov_b32 s3, exec_lo
	v_cmpx_gt_u32_e32 0x43800000, v2
	s_cbranch_execz .LBB18_2078
; %bb.2073:
	v_cmp_lt_u32_e32 vcc_lo, 0x3bffffff, v2
	s_mov_b32 s5, 0
                                        ; implicit-def: $vgpr2
	s_and_saveexec_b32 s8, vcc_lo
	s_xor_b32 s8, exec_lo, s8
	s_cbranch_execz .LBB18_2140
; %bb.2074:
	v_bfe_u32 v2, v6, 20, 1
	s_mov_b32 s5, exec_lo
	v_add3_u32 v2, v6, v2, 0x487ffff
	v_lshrrev_b32_e32 v2, 20, v2
	s_andn2_saveexec_b32 s8, s8
	s_cbranch_execnz .LBB18_2141
.LBB18_2075:
	s_or_b32 exec_lo, exec_lo, s8
	v_mov_b32_e32 v3, 0
	s_and_saveexec_b32 s8, s5
.LBB18_2076:
	v_lshrrev_b32_e32 v3, 24, v6
	v_and_or_b32 v3, 0x80, v3, v2
.LBB18_2077:
	s_or_b32 exec_lo, exec_lo, s8
.LBB18_2078:
	s_or_b32 exec_lo, exec_lo, s3
	global_store_byte v[0:1], v3, off
.LBB18_2079:
	s_mov_b32 s3, 0
.LBB18_2080:
	s_and_b32 vcc_lo, exec_lo, s3
	s_cbranch_vccz .LBB18_2120
; %bb.2081:
	s_cmp_gt_i32 s1, 22
	s_mov_b32 s2, -1
	s_cbranch_scc0 .LBB18_2113
; %bb.2082:
	s_cmp_lt_i32 s1, 24
	s_cbranch_scc1 .LBB18_2102
; %bb.2083:
	s_cmp_gt_i32 s1, 24
	s_cbranch_scc0 .LBB18_2091
; %bb.2084:
	v_and_b32_e32 v2, 0x7fffffff, v6
	v_mov_b32_e32 v3, 0x80
	s_mov_b32 s2, exec_lo
	v_cmpx_gt_u32_e32 0x47800000, v2
	s_cbranch_execz .LBB18_2090
; %bb.2085:
	v_cmp_lt_u32_e32 vcc_lo, 0x37ffffff, v2
	s_mov_b32 s3, 0
                                        ; implicit-def: $vgpr2
	s_and_saveexec_b32 s5, vcc_lo
	s_xor_b32 s5, exec_lo, s5
	s_cbranch_execz .LBB18_2143
; %bb.2086:
	v_bfe_u32 v2, v6, 21, 1
	s_mov_b32 s3, exec_lo
	v_add3_u32 v2, v6, v2, 0x88fffff
	v_lshrrev_b32_e32 v2, 21, v2
	s_andn2_saveexec_b32 s5, s5
	s_cbranch_execnz .LBB18_2144
.LBB18_2087:
	s_or_b32 exec_lo, exec_lo, s5
	v_mov_b32_e32 v3, 0
	s_and_saveexec_b32 s5, s3
.LBB18_2088:
	v_lshrrev_b32_e32 v3, 24, v6
	v_and_or_b32 v3, 0x80, v3, v2
.LBB18_2089:
	s_or_b32 exec_lo, exec_lo, s5
.LBB18_2090:
	s_or_b32 exec_lo, exec_lo, s2
	s_mov_b32 s2, 0
	global_store_byte v[0:1], v3, off
.LBB18_2091:
	s_and_b32 vcc_lo, exec_lo, s2
	s_cbranch_vccz .LBB18_2101
; %bb.2092:
	v_and_b32_e32 v3, 0x7fffffff, v6
	s_mov_b32 s2, exec_lo
                                        ; implicit-def: $vgpr2
	v_cmpx_gt_u32_e32 0x43f00000, v3
	s_xor_b32 s2, exec_lo, s2
	s_cbranch_execz .LBB18_2098
; %bb.2093:
	s_mov_b32 s3, exec_lo
                                        ; implicit-def: $vgpr2
	v_cmpx_lt_u32_e32 0x3c7fffff, v3
	s_xor_b32 s3, exec_lo, s3
; %bb.2094:
	v_bfe_u32 v2, v6, 20, 1
	v_add3_u32 v2, v6, v2, 0x407ffff
	v_and_b32_e32 v3, 0xff00000, v2
	v_lshrrev_b32_e32 v2, 20, v2
	v_cmp_ne_u32_e32 vcc_lo, 0x7f00000, v3
	v_cndmask_b32_e32 v2, 0x7e, v2, vcc_lo
; %bb.2095:
	s_andn2_saveexec_b32 s3, s3
; %bb.2096:
	v_add_f32_e64 v2, 0x46800000, |v6|
; %bb.2097:
	s_or_b32 exec_lo, exec_lo, s3
                                        ; implicit-def: $vgpr3
.LBB18_2098:
	s_andn2_saveexec_b32 s2, s2
; %bb.2099:
	v_mov_b32_e32 v2, 0x7f
	v_cmp_lt_u32_e32 vcc_lo, 0x7f800000, v3
	v_cndmask_b32_e32 v2, 0x7e, v2, vcc_lo
; %bb.2100:
	s_or_b32 exec_lo, exec_lo, s2
	v_lshrrev_b32_e32 v3, 24, v6
	v_and_or_b32 v2, 0x80, v3, v2
	global_store_byte v[0:1], v2, off
.LBB18_2101:
	s_mov_b32 s2, 0
.LBB18_2102:
	s_andn2_b32 vcc_lo, exec_lo, s2
	s_cbranch_vccnz .LBB18_2112
; %bb.2103:
	v_and_b32_e32 v3, 0x7fffffff, v6
	s_mov_b32 s2, exec_lo
                                        ; implicit-def: $vgpr2
	v_cmpx_gt_u32_e32 0x47800000, v3
	s_xor_b32 s2, exec_lo, s2
	s_cbranch_execz .LBB18_2109
; %bb.2104:
	s_mov_b32 s3, exec_lo
                                        ; implicit-def: $vgpr2
	v_cmpx_lt_u32_e32 0x387fffff, v3
	s_xor_b32 s3, exec_lo, s3
; %bb.2105:
	v_bfe_u32 v2, v6, 21, 1
	v_add3_u32 v2, v6, v2, 0x80fffff
	v_lshrrev_b32_e32 v2, 21, v2
; %bb.2106:
	s_andn2_saveexec_b32 s3, s3
; %bb.2107:
	v_add_f32_e64 v2, 0x43000000, |v6|
; %bb.2108:
	s_or_b32 exec_lo, exec_lo, s3
                                        ; implicit-def: $vgpr3
.LBB18_2109:
	s_andn2_saveexec_b32 s2, s2
; %bb.2110:
	v_mov_b32_e32 v2, 0x7f
	v_cmp_lt_u32_e32 vcc_lo, 0x7f800000, v3
	v_cndmask_b32_e32 v2, 0x7c, v2, vcc_lo
; %bb.2111:
	s_or_b32 exec_lo, exec_lo, s2
	v_lshrrev_b32_e32 v3, 24, v6
	v_and_or_b32 v2, 0x80, v3, v2
	global_store_byte v[0:1], v2, off
.LBB18_2112:
	s_mov_b32 s2, 0
.LBB18_2113:
	s_andn2_b32 vcc_lo, exec_lo, s2
	s_mov_b32 s2, 0
	s_cbranch_vccnz .LBB18_2120
; %bb.2114:
	s_cmp_gt_i32 s1, 14
	s_mov_b32 s2, -1
	s_cbranch_scc0 .LBB18_2118
; %bb.2115:
	s_cmp_eq_u32 s1, 15
	s_mov_b32 s0, -1
	s_cbranch_scc0 .LBB18_2117
; %bb.2116:
	v_bfe_u32 v2, v6, 16, 1
	v_cmp_o_f32_e32 vcc_lo, v6, v6
	v_mov_b32_e32 v3, 0x7fc0
	s_mov_b32 s0, 0
	v_add3_u32 v2, v6, v2, 0x7fff
	v_cndmask_b32_sdwa v2, v3, v2, vcc_lo dst_sel:DWORD dst_unused:UNUSED_PAD src0_sel:DWORD src1_sel:WORD_1
	global_store_short v[0:1], v2, off
.LBB18_2117:
	s_mov_b32 s2, 0
.LBB18_2118:
	s_and_b32 vcc_lo, exec_lo, s2
	s_mov_b32 s2, 0
	s_cbranch_vccz .LBB18_2120
; %bb.2119:
	s_cmp_lg_u32 s1, 11
	s_mov_b32 s2, -1
	s_cselect_b32 s0, -1, 0
.LBB18_2120:
	s_and_b32 vcc_lo, exec_lo, s0
	s_cbranch_vccnz .LBB18_2142
.LBB18_2121:
	s_mov_b32 s0, 0
	s_branch .LBB18_1723
.LBB18_2122:
	s_mov_b32 s0, 0
	s_mov_b32 s2, 0
                                        ; implicit-def: $sgpr12
                                        ; implicit-def: $vgpr0_vgpr1
	s_branch .LBB18_1723
.LBB18_2123:
	s_mov_b32 s2, 0
	s_mov_b32 s0, -1
	s_branch .LBB18_1723
.LBB18_2124:
	s_or_b32 s4, s4, exec_lo
	s_trap 2
	s_cbranch_execz .LBB18_1580
	s_branch .LBB18_1581
.LBB18_2125:
	s_andn2_saveexec_b32 s11, s11
	s_cbranch_execz .LBB18_1672
.LBB18_2126:
	v_add_f32_e64 v1, 0x46000000, |v0|
	s_andn2_b32 s10, s10, exec_lo
	v_and_b32_e32 v1, 0xff, v1
	v_cmp_ne_u32_e32 vcc_lo, 0, v1
	s_and_b32 s13, vcc_lo, exec_lo
	s_or_b32 s10, s10, s13
	s_or_b32 exec_lo, exec_lo, s11
	v_mov_b32_e32 v5, 0
	s_and_saveexec_b32 s11, s10
	s_cbranch_execnz .LBB18_1673
	s_branch .LBB18_1674
.LBB18_2127:
	s_or_b32 s4, s4, exec_lo
	s_trap 2
	s_cbranch_execz .LBB18_1720
	s_branch .LBB18_1721
.LBB18_2128:
	s_andn2_saveexec_b32 s10, s10
	s_cbranch_execz .LBB18_1685
.LBB18_2129:
	v_add_f32_e64 v1, 0x42800000, |v0|
	s_andn2_b32 s5, s5, exec_lo
	v_and_b32_e32 v1, 0xff, v1
	v_cmp_ne_u32_e32 vcc_lo, 0, v1
	s_and_b32 s11, vcc_lo, exec_lo
	s_or_b32 s5, s5, s11
	s_or_b32 exec_lo, exec_lo, s10
	v_mov_b32_e32 v5, 0
	s_and_saveexec_b32 s10, s5
	s_cbranch_execnz .LBB18_1686
	s_branch .LBB18_1687
.LBB18_2130:
	s_andn2_saveexec_b32 s11, s11
	s_cbranch_execz .LBB18_1836
.LBB18_2131:
	v_add_f32_e64 v3, 0x46000000, |v2|
	s_andn2_b32 s10, s10, exec_lo
	v_and_b32_e32 v3, 0xff, v3
	v_cmp_ne_u32_e32 vcc_lo, 0, v3
	s_and_b32 s13, vcc_lo, exec_lo
	s_or_b32 s10, s10, s13
	s_or_b32 exec_lo, exec_lo, s11
	v_mov_b32_e32 v7, 0
	s_and_saveexec_b32 s11, s10
	s_cbranch_execnz .LBB18_1837
	s_branch .LBB18_1838
.LBB18_2132:
	s_or_b32 s4, s4, exec_lo
	s_trap 2
	s_cbranch_execz .LBB18_1884
	s_branch .LBB18_1885
.LBB18_2133:
	s_andn2_saveexec_b32 s10, s10
	s_cbranch_execz .LBB18_1849
.LBB18_2134:
	v_add_f32_e64 v3, 0x42800000, |v2|
	s_andn2_b32 s5, s5, exec_lo
	v_and_b32_e32 v3, 0xff, v3
	v_cmp_ne_u32_e32 vcc_lo, 0, v3
	s_and_b32 s11, vcc_lo, exec_lo
	s_or_b32 s5, s5, s11
	s_or_b32 exec_lo, exec_lo, s10
	v_mov_b32_e32 v7, 0
	s_and_saveexec_b32 s10, s5
	s_cbranch_execnz .LBB18_1850
	s_branch .LBB18_1851
.LBB18_2135:
	s_andn2_saveexec_b32 s11, s11
	s_cbranch_execz .LBB18_1955
.LBB18_2136:
	v_add_f32_e64 v3, 0x46000000, |v4|
	s_andn2_b32 s10, s10, exec_lo
	v_and_b32_e32 v3, 0xff, v3
	v_cmp_ne_u32_e32 vcc_lo, 0, v3
	s_and_b32 s13, vcc_lo, exec_lo
	s_or_b32 s10, s10, s13
	s_or_b32 exec_lo, exec_lo, s11
	v_mov_b32_e32 v5, 0
	s_and_saveexec_b32 s11, s10
	s_cbranch_execnz .LBB18_1956
	s_branch .LBB18_1957
.LBB18_2137:
	s_or_b32 s4, s4, exec_lo
	s_trap 2
	s_cbranch_execz .LBB18_2003
	s_branch .LBB18_2004
.LBB18_2138:
	s_andn2_saveexec_b32 s10, s10
	s_cbranch_execz .LBB18_1968
.LBB18_2139:
	v_add_f32_e64 v3, 0x42800000, |v4|
	s_andn2_b32 s5, s5, exec_lo
	v_and_b32_e32 v3, 0xff, v3
	v_cmp_ne_u32_e32 vcc_lo, 0, v3
	s_and_b32 s11, vcc_lo, exec_lo
	s_or_b32 s5, s5, s11
	s_or_b32 exec_lo, exec_lo, s10
	v_mov_b32_e32 v5, 0
	s_and_saveexec_b32 s10, s5
	s_cbranch_execnz .LBB18_1969
	s_branch .LBB18_1970
.LBB18_2140:
	s_andn2_saveexec_b32 s8, s8
	s_cbranch_execz .LBB18_2075
.LBB18_2141:
	v_add_f32_e64 v2, 0x46000000, |v6|
	s_andn2_b32 s5, s5, exec_lo
	v_and_b32_e32 v2, 0xff, v2
	v_cmp_ne_u32_e32 vcc_lo, 0, v2
	s_and_b32 s9, vcc_lo, exec_lo
	s_or_b32 s5, s5, s9
	s_or_b32 exec_lo, exec_lo, s8
	v_mov_b32_e32 v3, 0
	s_and_saveexec_b32 s8, s5
	s_cbranch_execnz .LBB18_2076
	s_branch .LBB18_2077
.LBB18_2142:
	s_mov_b32 s2, 0
	s_or_b32 s4, s4, exec_lo
	s_trap 2
	s_branch .LBB18_2121
.LBB18_2143:
	s_andn2_saveexec_b32 s5, s5
	s_cbranch_execz .LBB18_2087
.LBB18_2144:
	v_add_f32_e64 v2, 0x42800000, |v6|
	s_andn2_b32 s3, s3, exec_lo
	v_and_b32_e32 v2, 0xff, v2
	v_cmp_ne_u32_e32 vcc_lo, 0, v2
	s_and_b32 s8, vcc_lo, exec_lo
	s_or_b32 s3, s3, s8
	s_or_b32 exec_lo, exec_lo, s5
	v_mov_b32_e32 v3, 0
	s_and_saveexec_b32 s5, s3
	s_cbranch_execnz .LBB18_2088
	s_branch .LBB18_2089
	.section	.rodata,"a",@progbits
	.p2align	6, 0x0
	.amdhsa_kernel _ZN2at6native32elementwise_kernel_manual_unrollILi128ELi4EZNS0_15gpu_kernel_implIZZZNS0_12_GLOBAL__N_130modified_bessel_i1_kernel_cudaERNS_18TensorIteratorBaseEENKUlvE_clEvENKUlvE0_clEvEUlfE_EEvS5_RKT_EUlibE_EEviT1_
		.amdhsa_group_segment_fixed_size 0
		.amdhsa_private_segment_fixed_size 0
		.amdhsa_kernarg_size 40
		.amdhsa_user_sgpr_count 6
		.amdhsa_user_sgpr_private_segment_buffer 1
		.amdhsa_user_sgpr_dispatch_ptr 0
		.amdhsa_user_sgpr_queue_ptr 0
		.amdhsa_user_sgpr_kernarg_segment_ptr 1
		.amdhsa_user_sgpr_dispatch_id 0
		.amdhsa_user_sgpr_flat_scratch_init 0
		.amdhsa_user_sgpr_private_segment_size 0
		.amdhsa_wavefront_size32 1
		.amdhsa_uses_dynamic_stack 0
		.amdhsa_system_sgpr_private_segment_wavefront_offset 0
		.amdhsa_system_sgpr_workgroup_id_x 1
		.amdhsa_system_sgpr_workgroup_id_y 0
		.amdhsa_system_sgpr_workgroup_id_z 0
		.amdhsa_system_sgpr_workgroup_info 0
		.amdhsa_system_vgpr_workitem_id 0
		.amdhsa_next_free_vgpr 13
		.amdhsa_next_free_sgpr 26
		.amdhsa_reserve_vcc 1
		.amdhsa_reserve_flat_scratch 0
		.amdhsa_float_round_mode_32 0
		.amdhsa_float_round_mode_16_64 0
		.amdhsa_float_denorm_mode_32 3
		.amdhsa_float_denorm_mode_16_64 3
		.amdhsa_dx10_clamp 1
		.amdhsa_ieee_mode 1
		.amdhsa_fp16_overflow 0
		.amdhsa_workgroup_processor_mode 1
		.amdhsa_memory_ordered 1
		.amdhsa_forward_progress 1
		.amdhsa_shared_vgpr_count 0
		.amdhsa_exception_fp_ieee_invalid_op 0
		.amdhsa_exception_fp_denorm_src 0
		.amdhsa_exception_fp_ieee_div_zero 0
		.amdhsa_exception_fp_ieee_overflow 0
		.amdhsa_exception_fp_ieee_underflow 0
		.amdhsa_exception_fp_ieee_inexact 0
		.amdhsa_exception_int_div_zero 0
	.end_amdhsa_kernel
	.section	.text._ZN2at6native32elementwise_kernel_manual_unrollILi128ELi4EZNS0_15gpu_kernel_implIZZZNS0_12_GLOBAL__N_130modified_bessel_i1_kernel_cudaERNS_18TensorIteratorBaseEENKUlvE_clEvENKUlvE0_clEvEUlfE_EEvS5_RKT_EUlibE_EEviT1_,"axG",@progbits,_ZN2at6native32elementwise_kernel_manual_unrollILi128ELi4EZNS0_15gpu_kernel_implIZZZNS0_12_GLOBAL__N_130modified_bessel_i1_kernel_cudaERNS_18TensorIteratorBaseEENKUlvE_clEvENKUlvE0_clEvEUlfE_EEvS5_RKT_EUlibE_EEviT1_,comdat
.Lfunc_end18:
	.size	_ZN2at6native32elementwise_kernel_manual_unrollILi128ELi4EZNS0_15gpu_kernel_implIZZZNS0_12_GLOBAL__N_130modified_bessel_i1_kernel_cudaERNS_18TensorIteratorBaseEENKUlvE_clEvENKUlvE0_clEvEUlfE_EEvS5_RKT_EUlibE_EEviT1_, .Lfunc_end18-_ZN2at6native32elementwise_kernel_manual_unrollILi128ELi4EZNS0_15gpu_kernel_implIZZZNS0_12_GLOBAL__N_130modified_bessel_i1_kernel_cudaERNS_18TensorIteratorBaseEENKUlvE_clEvENKUlvE0_clEvEUlfE_EEvS5_RKT_EUlibE_EEviT1_
                                        ; -- End function
	.set _ZN2at6native32elementwise_kernel_manual_unrollILi128ELi4EZNS0_15gpu_kernel_implIZZZNS0_12_GLOBAL__N_130modified_bessel_i1_kernel_cudaERNS_18TensorIteratorBaseEENKUlvE_clEvENKUlvE0_clEvEUlfE_EEvS5_RKT_EUlibE_EEviT1_.num_vgpr, 13
	.set _ZN2at6native32elementwise_kernel_manual_unrollILi128ELi4EZNS0_15gpu_kernel_implIZZZNS0_12_GLOBAL__N_130modified_bessel_i1_kernel_cudaERNS_18TensorIteratorBaseEENKUlvE_clEvENKUlvE0_clEvEUlfE_EEvS5_RKT_EUlibE_EEviT1_.num_agpr, 0
	.set _ZN2at6native32elementwise_kernel_manual_unrollILi128ELi4EZNS0_15gpu_kernel_implIZZZNS0_12_GLOBAL__N_130modified_bessel_i1_kernel_cudaERNS_18TensorIteratorBaseEENKUlvE_clEvENKUlvE0_clEvEUlfE_EEvS5_RKT_EUlibE_EEviT1_.numbered_sgpr, 26
	.set _ZN2at6native32elementwise_kernel_manual_unrollILi128ELi4EZNS0_15gpu_kernel_implIZZZNS0_12_GLOBAL__N_130modified_bessel_i1_kernel_cudaERNS_18TensorIteratorBaseEENKUlvE_clEvENKUlvE0_clEvEUlfE_EEvS5_RKT_EUlibE_EEviT1_.num_named_barrier, 0
	.set _ZN2at6native32elementwise_kernel_manual_unrollILi128ELi4EZNS0_15gpu_kernel_implIZZZNS0_12_GLOBAL__N_130modified_bessel_i1_kernel_cudaERNS_18TensorIteratorBaseEENKUlvE_clEvENKUlvE0_clEvEUlfE_EEvS5_RKT_EUlibE_EEviT1_.private_seg_size, 0
	.set _ZN2at6native32elementwise_kernel_manual_unrollILi128ELi4EZNS0_15gpu_kernel_implIZZZNS0_12_GLOBAL__N_130modified_bessel_i1_kernel_cudaERNS_18TensorIteratorBaseEENKUlvE_clEvENKUlvE0_clEvEUlfE_EEvS5_RKT_EUlibE_EEviT1_.uses_vcc, 1
	.set _ZN2at6native32elementwise_kernel_manual_unrollILi128ELi4EZNS0_15gpu_kernel_implIZZZNS0_12_GLOBAL__N_130modified_bessel_i1_kernel_cudaERNS_18TensorIteratorBaseEENKUlvE_clEvENKUlvE0_clEvEUlfE_EEvS5_RKT_EUlibE_EEviT1_.uses_flat_scratch, 0
	.set _ZN2at6native32elementwise_kernel_manual_unrollILi128ELi4EZNS0_15gpu_kernel_implIZZZNS0_12_GLOBAL__N_130modified_bessel_i1_kernel_cudaERNS_18TensorIteratorBaseEENKUlvE_clEvENKUlvE0_clEvEUlfE_EEvS5_RKT_EUlibE_EEviT1_.has_dyn_sized_stack, 0
	.set _ZN2at6native32elementwise_kernel_manual_unrollILi128ELi4EZNS0_15gpu_kernel_implIZZZNS0_12_GLOBAL__N_130modified_bessel_i1_kernel_cudaERNS_18TensorIteratorBaseEENKUlvE_clEvENKUlvE0_clEvEUlfE_EEvS5_RKT_EUlibE_EEviT1_.has_recursion, 0
	.set _ZN2at6native32elementwise_kernel_manual_unrollILi128ELi4EZNS0_15gpu_kernel_implIZZZNS0_12_GLOBAL__N_130modified_bessel_i1_kernel_cudaERNS_18TensorIteratorBaseEENKUlvE_clEvENKUlvE0_clEvEUlfE_EEvS5_RKT_EUlibE_EEviT1_.has_indirect_call, 0
	.section	.AMDGPU.csdata,"",@progbits
; Kernel info:
; codeLenInByte = 44528
; TotalNumSgprs: 28
; NumVgprs: 13
; ScratchSize: 0
; MemoryBound: 1
; FloatMode: 240
; IeeeMode: 1
; LDSByteSize: 0 bytes/workgroup (compile time only)
; SGPRBlocks: 0
; VGPRBlocks: 1
; NumSGPRsForWavesPerEU: 28
; NumVGPRsForWavesPerEU: 13
; Occupancy: 16
; WaveLimiterHint : 0
; COMPUTE_PGM_RSRC2:SCRATCH_EN: 0
; COMPUTE_PGM_RSRC2:USER_SGPR: 6
; COMPUTE_PGM_RSRC2:TRAP_HANDLER: 0
; COMPUTE_PGM_RSRC2:TGID_X_EN: 1
; COMPUTE_PGM_RSRC2:TGID_Y_EN: 0
; COMPUTE_PGM_RSRC2:TGID_Z_EN: 0
; COMPUTE_PGM_RSRC2:TIDIG_COMP_CNT: 0
	.section	.text._ZN2at6native32elementwise_kernel_manual_unrollILi128ELi4EZNS0_15gpu_kernel_implIZZZNS0_12_GLOBAL__N_130modified_bessel_i1_kernel_cudaERNS_18TensorIteratorBaseEENKUlvE_clEvENKUlvE0_clEvEUlfE_EEvS5_RKT_EUlibE0_EEviT1_,"axG",@progbits,_ZN2at6native32elementwise_kernel_manual_unrollILi128ELi4EZNS0_15gpu_kernel_implIZZZNS0_12_GLOBAL__N_130modified_bessel_i1_kernel_cudaERNS_18TensorIteratorBaseEENKUlvE_clEvENKUlvE0_clEvEUlfE_EEvS5_RKT_EUlibE0_EEviT1_,comdat
	.globl	_ZN2at6native32elementwise_kernel_manual_unrollILi128ELi4EZNS0_15gpu_kernel_implIZZZNS0_12_GLOBAL__N_130modified_bessel_i1_kernel_cudaERNS_18TensorIteratorBaseEENKUlvE_clEvENKUlvE0_clEvEUlfE_EEvS5_RKT_EUlibE0_EEviT1_ ; -- Begin function _ZN2at6native32elementwise_kernel_manual_unrollILi128ELi4EZNS0_15gpu_kernel_implIZZZNS0_12_GLOBAL__N_130modified_bessel_i1_kernel_cudaERNS_18TensorIteratorBaseEENKUlvE_clEvENKUlvE0_clEvEUlfE_EEvS5_RKT_EUlibE0_EEviT1_
	.p2align	8
	.type	_ZN2at6native32elementwise_kernel_manual_unrollILi128ELi4EZNS0_15gpu_kernel_implIZZZNS0_12_GLOBAL__N_130modified_bessel_i1_kernel_cudaERNS_18TensorIteratorBaseEENKUlvE_clEvENKUlvE0_clEvEUlfE_EEvS5_RKT_EUlibE0_EEviT1_,@function
_ZN2at6native32elementwise_kernel_manual_unrollILi128ELi4EZNS0_15gpu_kernel_implIZZZNS0_12_GLOBAL__N_130modified_bessel_i1_kernel_cudaERNS_18TensorIteratorBaseEENKUlvE_clEvENKUlvE0_clEvEUlfE_EEvS5_RKT_EUlibE0_EEviT1_: ; @_ZN2at6native32elementwise_kernel_manual_unrollILi128ELi4EZNS0_15gpu_kernel_implIZZZNS0_12_GLOBAL__N_130modified_bessel_i1_kernel_cudaERNS_18TensorIteratorBaseEENKUlvE_clEvENKUlvE0_clEvEUlfE_EEvS5_RKT_EUlibE0_EEviT1_
; %bb.0:
	s_clause 0x1
	s_load_dword s24, s[4:5], 0x8
	s_load_dword s33, s[4:5], 0x0
	v_lshl_or_b32 v8, s6, 9, v0
	s_add_u32 s2, s4, 8
	s_addc_u32 s3, s5, 0
	s_mov_b32 s1, -1
	s_mov_b32 s26, 0
	v_or_b32_e32 v15, 0x180, v8
	s_mov_b32 s12, 0
	s_mov_b32 s0, exec_lo
	s_waitcnt lgkmcnt(0)
	s_add_i32 s25, s24, -1
	s_cmp_gt_u32 s25, 1
	s_cselect_b32 s27, -1, 0
	v_cmpx_le_i32_e64 s33, v15
	s_xor_b32 s28, exec_lo, s0
	s_cbranch_execz .LBB19_1137
; %bb.1:
	v_mov_b32_e32 v0, 0
	s_clause 0x3
	s_load_dwordx4 s[16:19], s[2:3], 0x4
	s_load_dwordx2 s[6:7], s[2:3], 0x14
	s_load_dwordx4 s[12:15], s[2:3], 0xc4
	s_load_dwordx4 s[8:11], s[2:3], 0x148
	s_cmp_lg_u32 s24, 0
	s_mov_b32 s39, 0
	s_cselect_b32 s34, -1, 0
	global_load_ushort v0, v0, s[2:3] offset:345
	s_add_u32 s20, s2, 0xc4
	s_addc_u32 s21, s3, 0
	s_min_u32 s35, s25, 15
	s_cmp_gt_u32 s24, 1
	s_mov_b32 s37, 0
	s_cselect_b32 s31, -1, 0
	s_mov_b32 s36, 0
	s_mov_b32 s38, exec_lo
	s_waitcnt vmcnt(0)
	v_readfirstlane_b32 s29, v0
	s_and_b32 s0, 0xffff, s29
	s_lshr_b32 s30, s0, 8
	v_cmpx_gt_i32_e64 s33, v8
	s_cbranch_execz .LBB19_278
; %bb.2:
	s_andn2_b32 vcc_lo, exec_lo, s27
	s_cbranch_vccnz .LBB19_7
; %bb.3:
	s_andn2_b32 vcc_lo, exec_lo, s34
	s_cbranch_vccnz .LBB19_8
; %bb.4:
	s_add_i32 s37, s35, 1
	s_cmp_eq_u32 s25, 2
	s_cbranch_scc1 .LBB19_9
; %bb.5:
	v_mov_b32_e32 v2, 0
	v_mov_b32_e32 v0, 0
	;; [unrolled: 1-line block ×3, first 2 shown]
	s_and_b32 s36, s37, 28
	s_mov_b32 s40, 0
	s_mov_b64 s[0:1], s[2:3]
	s_mov_b64 s[22:23], s[20:21]
.LBB19_6:                               ; =>This Inner Loop Header: Depth=1
	s_clause 0x1
	s_load_dwordx8 s[44:51], s[0:1], 0x4
	s_load_dwordx4 s[60:63], s[0:1], 0x24
	s_load_dwordx8 s[52:59], s[22:23], 0x0
	s_add_u32 s0, s0, 48
	s_addc_u32 s1, s1, 0
	s_add_i32 s40, s40, 4
	s_add_u32 s22, s22, 32
	s_addc_u32 s23, s23, 0
	s_cmp_lg_u32 s36, s40
	s_waitcnt lgkmcnt(0)
	v_mul_hi_u32 v3, s45, v1
	v_add_nc_u32_e32 v3, v1, v3
	v_lshrrev_b32_e32 v3, s46, v3
	v_mul_hi_u32 v4, s48, v3
	v_mul_lo_u32 v6, v3, s44
	v_add_nc_u32_e32 v4, v3, v4
	v_sub_nc_u32_e32 v1, v1, v6
	v_lshrrev_b32_e32 v4, s49, v4
	v_mul_lo_u32 v6, v1, s52
	v_mul_lo_u32 v9, v1, s53
	v_mul_hi_u32 v5, s51, v4
	v_add_nc_u32_e32 v5, v4, v5
	v_lshrrev_b32_e32 v5, s60, v5
	v_mul_hi_u32 v7, s62, v5
	v_mul_lo_u32 v10, v5, s50
	v_add_nc_u32_e32 v1, v5, v7
	v_mul_lo_u32 v7, v4, s47
	v_sub_nc_u32_e32 v4, v4, v10
	v_lshrrev_b32_e32 v1, s63, v1
	v_mul_lo_u32 v10, v4, s56
	v_mul_lo_u32 v4, v4, s57
	v_sub_nc_u32_e32 v3, v3, v7
	v_mul_lo_u32 v11, v1, s61
	v_mul_lo_u32 v7, v3, s54
	;; [unrolled: 1-line block ×3, first 2 shown]
	v_sub_nc_u32_e32 v5, v5, v11
	v_add3_u32 v0, v6, v0, v7
	v_mul_lo_u32 v11, v5, s58
	v_mul_lo_u32 v5, v5, s59
	v_add3_u32 v2, v9, v2, v3
	v_add3_u32 v0, v10, v0, v11
	;; [unrolled: 1-line block ×3, first 2 shown]
	s_cbranch_scc1 .LBB19_6
	s_branch .LBB19_10
.LBB19_7:
                                        ; implicit-def: $vgpr0
                                        ; implicit-def: $vgpr2
	s_branch .LBB19_14
.LBB19_8:
	v_mov_b32_e32 v0, 0
	v_mov_b32_e32 v2, 0
	s_branch .LBB19_13
.LBB19_9:
	v_mov_b32_e32 v0, 0
	v_mov_b32_e32 v2, 0
	;; [unrolled: 1-line block ×3, first 2 shown]
.LBB19_10:
	s_and_b32 s37, s37, 3
	s_cmp_eq_u32 s37, 0
	s_cbranch_scc1 .LBB19_13
; %bb.11:
	s_lshl_b32 s0, s36, 3
	s_mul_i32 s22, s36, 12
	s_add_u32 s0, s2, s0
	s_addc_u32 s1, s3, 0
	s_add_u32 s0, s0, 0xc4
	s_addc_u32 s1, s1, 0
	;; [unrolled: 2-line block ×3, first 2 shown]
	.p2align	6
.LBB19_12:                              ; =>This Inner Loop Header: Depth=1
	s_clause 0x1
	s_load_dwordx2 s[40:41], s[22:23], 0x4
	s_load_dword s36, s[22:23], 0xc
	s_load_dwordx2 s[42:43], s[0:1], 0x0
	s_add_u32 s22, s22, 12
	s_addc_u32 s23, s23, 0
	s_add_u32 s0, s0, 8
	s_addc_u32 s1, s1, 0
	s_add_i32 s37, s37, -1
	s_cmp_lg_u32 s37, 0
	s_waitcnt lgkmcnt(0)
	v_mul_hi_u32 v3, s41, v1
	v_add_nc_u32_e32 v3, v1, v3
	v_lshrrev_b32_e32 v4, s36, v3
	v_mul_lo_u32 v3, v4, s40
	v_sub_nc_u32_e32 v3, v1, v3
	v_mad_u64_u32 v[0:1], null, v3, s42, v[0:1]
	v_mad_u64_u32 v[2:3], null, v3, s43, v[2:3]
	v_mov_b32_e32 v1, v4
	s_cbranch_scc1 .LBB19_12
.LBB19_13:
	s_cbranch_execnz .LBB19_16
.LBB19_14:
	s_waitcnt lgkmcnt(0)
	v_mul_hi_u32 v0, s17, v8
	s_andn2_b32 vcc_lo, exec_lo, s31
	v_add_nc_u32_e32 v0, v8, v0
	v_lshrrev_b32_e32 v1, s18, v0
	v_mul_lo_u32 v0, v1, s16
	v_sub_nc_u32_e32 v2, v8, v0
	v_mul_lo_u32 v0, v2, s12
	v_mul_lo_u32 v2, v2, s13
	s_cbranch_vccnz .LBB19_16
; %bb.15:
	v_mul_hi_u32 v3, s6, v1
	v_add_nc_u32_e32 v3, v1, v3
	v_lshrrev_b32_e32 v3, s7, v3
	v_mul_lo_u32 v3, v3, s19
	v_sub_nc_u32_e32 v3, v1, v3
	v_mad_u64_u32 v[0:1], null, v3, s14, v[0:1]
	v_mad_u64_u32 v[2:3], null, v3, s15, v[2:3]
.LBB19_16:
	s_waitcnt lgkmcnt(0)
	v_add_co_u32 v1, s0, s10, v2
	v_add_co_ci_u32_e64 v2, null, s11, 0, s0
	s_and_b32 s0, 0xffff, s30
	s_cmp_lt_i32 s0, 11
	s_cbranch_scc1 .LBB19_23
; %bb.17:
	s_cmp_gt_i32 s0, 25
	s_cbranch_scc0 .LBB19_44
; %bb.18:
	s_cmp_gt_i32 s0, 28
	s_cbranch_scc0 .LBB19_47
	;; [unrolled: 3-line block ×4, first 2 shown]
; %bb.21:
	s_cmp_eq_u32 s0, 46
	s_mov_b32 s23, 0
	s_cbranch_scc0 .LBB19_53
; %bb.22:
	global_load_dword v3, v[1:2], off
	s_mov_b32 s22, -1
	s_mov_b32 s1, 0
	s_waitcnt vmcnt(0)
	v_lshlrev_b32_e32 v3, 16, v3
	s_branch .LBB19_55
.LBB19_23:
	s_mov_b32 s1, 0
	s_mov_b32 s22, 0
                                        ; implicit-def: $vgpr3
	s_cbranch_execnz .LBB19_228
.LBB19_24:
	s_andn2_b32 vcc_lo, exec_lo, s22
	s_cbranch_vccnz .LBB19_275
.LBB19_25:
	s_mov_b32 s22, exec_lo
                                        ; implicit-def: $vgpr1
	s_waitcnt vmcnt(0)
	v_cmpx_ge_f32_e64 0x41000000, |v3|
	s_xor_b32 s22, exec_lo, s22
	s_cbranch_execz .LBB19_31
; %bb.26:
	v_fma_f32 v1, |v3|, 0.5, -2.0
	s_mov_b32 s0, 0x224cf950
	v_mul_f32_e64 v5, 0x3fb8aa3b, |v3|
	v_cmp_ngt_f32_e64 vcc_lo, 0xc2ce8ed0, |v3|
	v_fmaak_f32 v2, s0, v1, 0xa3c2be86
	v_cmp_nlt_f32_e64 s0, 0x42b17218, |v3|
	v_rndne_f32_e32 v6, v5
	v_fma_f32 v7, 0x3fb8aa3b, |v3|, -v5
	v_fmaak_f32 v4, v1, v2, 0xa24cf950
	v_sub_f32_e32 v5, v5, v6
	v_fma_f32 v7, 0x32a5705f, |v3|, v7
	v_add_f32_e32 v4, 0x25331f1f, v4
	v_add_f32_e32 v5, v5, v7
	v_fma_f32 v2, v1, v4, -v2
	v_add_f32_e32 v2, 0xa69f5554, v2
	v_fma_f32 v4, v1, v2, -v4
	;; [unrolled: 2-line block ×26, first 2 shown]
	v_exp_f32_e32 v2, v5
	v_cvt_i32_f32_e32 v5, v6
	v_add_f32_e32 v1, 0x3e81531c, v1
	v_sub_f32_e32 v1, v1, v4
	v_ldexp_f32 v2, v2, v5
	v_mul_f32_e32 v1, 0.5, v1
	v_cndmask_b32_e32 v4, 0, v2, vcc_lo
	v_cmp_ngt_f32_e32 vcc_lo, 0, v3
	v_mul_f32_e64 v2, |v3|, v1
	v_cndmask_b32_e64 v3, 0x7f800000, v4, s0
                                        ; implicit-def: $vgpr1
	s_and_saveexec_b32 s0, vcc_lo
	s_xor_b32 s0, exec_lo, s0
; %bb.27:
	v_mul_f32_e32 v1, v3, v2
                                        ; implicit-def: $vgpr3
                                        ; implicit-def: $vgpr2
; %bb.28:
	s_andn2_saveexec_b32 s0, s0
; %bb.29:
	v_mul_f32_e64 v1, v2, -v3
; %bb.30:
	s_or_b32 exec_lo, exec_lo, s0
                                        ; implicit-def: $vgpr3
.LBB19_31:
	s_andn2_saveexec_b32 s22, s22
	s_cbranch_execz .LBB19_37
; %bb.32:
	v_and_b32_e32 v1, 0x7fffffff, v3
	s_mov_b32 s0, 0x230aab6e
	v_div_scale_f32 v2, null, v1, v1, 0x42000000
	v_div_scale_f32 v1, vcc_lo, 0x42000000, v1, 0x42000000
	v_rcp_f32_e32 v4, v2
	v_fma_f32 v5, -v2, v4, 1.0
	v_fmac_f32_e32 v4, v5, v4
	v_mul_f32_e32 v5, v1, v4
	v_fma_f32 v6, -v2, v5, v1
	v_fmac_f32_e32 v5, v6, v4
	v_fma_f32 v1, -v2, v5, v1
	v_div_fmas_f32 v1, v1, v4, v5
	v_mul_f32_e64 v5, 0x3fb8aa3b, |v3|
	v_cmp_ngt_f32_e64 vcc_lo, 0xc2ce8ed0, |v3|
	v_div_fixup_f32 v1, v1, |v3|, 0x42000000
	v_rndne_f32_e32 v6, v5
	v_fma_f32 v7, 0x3fb8aa3b, |v3|, -v5
	v_add_f32_e32 v1, -2.0, v1
	v_sub_f32_e32 v5, v5, v6
	v_fma_f32 v7, 0x32a5705f, |v3|, v7
	v_cvt_i32_f32_e32 v6, v6
	v_fmaak_f32 v2, s0, v1, 0x22a2dc57
	v_cmp_nlt_f32_e64 s0, 0x42b17218, |v3|
	v_add_f32_e32 v5, v5, v7
	v_fmaak_f32 v4, v1, v2, 0xa30aab6e
	v_exp_f32_e32 v5, v5
	v_add_f32_e32 v4, 0xa456751e, v4
	v_fma_f32 v2, v1, v4, -v2
	v_ldexp_f32 v5, v5, v6
	v_add_f32_e32 v2, 0xa4140365, v2
	v_fma_f32 v4, v1, v2, -v4
	v_add_f32_e32 v4, 0x25aac8b0, v4
	v_fma_f32 v2, v1, v4, -v2
	;; [unrolled: 2-line block ×21, first 2 shown]
	v_cndmask_b32_e32 v2, 0, v5, vcc_lo
	v_add_f32_e32 v1, 0x3f4750c6, v1
	v_cndmask_b32_e64 v2, 0x7f800000, v2, s0
	s_mov_b32 s0, exec_lo
	v_sub_f32_e32 v4, v1, v4
                                        ; implicit-def: $vgpr1
	v_cmpx_ngt_f32_e32 0, v3
	s_xor_b32 s23, exec_lo, s0
	s_cbranch_execz .LBB19_34
; %bb.33:
	v_mul_f32_e64 v1, 0x4f800000, |v3|
	v_cmp_gt_f32_e64 vcc_lo, 0xf800000, |v3|
	v_mul_f32_e32 v4, 0.5, v4
	v_cndmask_b32_e64 v1, |v3|, v1, vcc_lo
	v_mul_f32_e32 v2, v2, v4
	v_sqrt_f32_e32 v3, v1
	v_add_nc_u32_e32 v5, -1, v3
	v_add_nc_u32_e32 v6, 1, v3
	v_fma_f32 v7, -v5, v3, v1
	v_fma_f32 v9, -v6, v3, v1
	v_cmp_ge_f32_e64 s0, 0, v7
	v_cndmask_b32_e64 v3, v3, v5, s0
	v_cmp_lt_f32_e64 s0, 0, v9
	v_cndmask_b32_e64 v3, v3, v6, s0
	v_mul_f32_e32 v5, 0x37800000, v3
	v_cndmask_b32_e32 v3, v3, v5, vcc_lo
	v_cmp_class_f32_e64 vcc_lo, v1, 0x260
	v_cndmask_b32_e32 v1, v3, v1, vcc_lo
	v_div_scale_f32 v3, null, v1, v1, v2
	v_rcp_f32_e32 v4, v3
	v_fma_f32 v5, -v3, v4, 1.0
	v_fmac_f32_e32 v4, v5, v4
	v_div_scale_f32 v5, vcc_lo, v2, v1, v2
	v_mul_f32_e32 v6, v5, v4
	v_fma_f32 v7, -v3, v6, v5
	v_fmac_f32_e32 v6, v7, v4
	v_fma_f32 v3, -v3, v6, v5
	v_div_fmas_f32 v3, v3, v4, v6
                                        ; implicit-def: $vgpr4
	v_div_fixup_f32 v1, v3, v1, v2
                                        ; implicit-def: $vgpr3
                                        ; implicit-def: $vgpr2
.LBB19_34:
	s_andn2_saveexec_b32 s23, s23
	s_cbranch_execz .LBB19_36
; %bb.35:
	v_mul_f32_e64 v1, 0x4f800000, |v3|
	v_cmp_gt_f32_e64 vcc_lo, 0xf800000, |v3|
	v_mul_f32_e32 v4, -0.5, v4
	v_cndmask_b32_e64 v1, |v3|, v1, vcc_lo
	v_mul_f32_e32 v2, v2, v4
	v_sqrt_f32_e32 v3, v1
	v_add_nc_u32_e32 v5, -1, v3
	v_add_nc_u32_e32 v6, 1, v3
	v_fma_f32 v7, -v5, v3, v1
	v_fma_f32 v9, -v6, v3, v1
	v_cmp_ge_f32_e64 s0, 0, v7
	v_cndmask_b32_e64 v3, v3, v5, s0
	v_cmp_lt_f32_e64 s0, 0, v9
	v_cndmask_b32_e64 v3, v3, v6, s0
	v_mul_f32_e32 v5, 0x37800000, v3
	v_cndmask_b32_e32 v3, v3, v5, vcc_lo
	v_cmp_class_f32_e64 vcc_lo, v1, 0x260
	v_cndmask_b32_e32 v1, v3, v1, vcc_lo
	v_div_scale_f32 v3, null, v1, v1, v2
	v_rcp_f32_e32 v4, v3
	v_fma_f32 v5, -v3, v4, 1.0
	v_fmac_f32_e32 v4, v5, v4
	v_div_scale_f32 v5, vcc_lo, v2, v1, v2
	v_mul_f32_e32 v6, v5, v4
	v_fma_f32 v7, -v3, v6, v5
	v_fmac_f32_e32 v6, v7, v4
	v_fma_f32 v3, -v3, v6, v5
	v_div_fmas_f32 v3, v3, v4, v6
	v_div_fixup_f32 v1, v3, v1, v2
.LBB19_36:
	s_or_b32 exec_lo, exec_lo, s23
.LBB19_37:
	s_or_b32 exec_lo, exec_lo, s22
	v_add_co_u32 v3, s0, s8, v0
	v_add_co_ci_u32_e64 v4, null, s9, 0, s0
	s_and_b32 s22, s29, 0xff
	s_cmp_lt_i32 s22, 11
	s_cbranch_scc1 .LBB19_45
; %bb.38:
	s_and_b32 s23, 0xffff, s22
	s_cmp_gt_i32 s23, 25
	s_cbranch_scc0 .LBB19_48
; %bb.39:
	s_cmp_gt_i32 s23, 28
	s_cbranch_scc0 .LBB19_50
; %bb.40:
	;; [unrolled: 3-line block ×4, first 2 shown]
	s_mov_b32 s37, 0
	s_mov_b32 s0, -1
	s_cmp_eq_u32 s23, 46
	s_mov_b32 s36, 0
	s_cbranch_scc0 .LBB19_59
; %bb.43:
	v_bfe_u32 v0, v1, 16, 1
	v_cmp_o_f32_e32 vcc_lo, v1, v1
	v_mov_b32_e32 v2, 0x7fc0
	s_mov_b32 s36, -1
	s_mov_b32 s0, 0
	v_add3_u32 v0, v1, v0, 0x7fff
	v_cndmask_b32_sdwa v0, v2, v0, vcc_lo dst_sel:DWORD dst_unused:UNUSED_PAD src0_sel:DWORD src1_sel:WORD_1
	global_store_dword v[3:4], v0, off
	s_branch .LBB19_59
.LBB19_44:
	s_mov_b32 s1, 0
	s_mov_b32 s22, 0
                                        ; implicit-def: $vgpr3
	s_cbranch_execnz .LBB19_193
	s_branch .LBB19_227
.LBB19_45:
	s_mov_b32 s0, 0
	s_mov_b32 s36, 0
	s_cbranch_execnz .LBB19_128
.LBB19_46:
	s_andn2_b32 vcc_lo, exec_lo, s36
	s_cbranch_vccz .LBB19_166
	s_branch .LBB19_276
.LBB19_47:
	s_mov_b32 s23, -1
	s_mov_b32 s1, 0
	s_mov_b32 s22, 0
                                        ; implicit-def: $vgpr3
	s_branch .LBB19_174
.LBB19_48:
	s_mov_b32 s37, -1
	s_mov_b32 s0, 0
	s_mov_b32 s36, 0
	s_branch .LBB19_86
.LBB19_49:
	s_mov_b32 s23, -1
	s_mov_b32 s1, 0
	s_mov_b32 s22, 0
                                        ; implicit-def: $vgpr3
	s_branch .LBB19_169
.LBB19_50:
	s_mov_b32 s37, -1
	s_mov_b32 s0, 0
	s_mov_b32 s36, 0
	s_branch .LBB19_69
.LBB19_51:
	s_mov_b32 s23, -1
	s_mov_b32 s1, 0
	s_branch .LBB19_54
.LBB19_52:
	s_mov_b32 s37, -1
	s_mov_b32 s0, 0
	s_mov_b32 s36, 0
	s_branch .LBB19_65
.LBB19_53:
	s_mov_b32 s1, -1
.LBB19_54:
	s_mov_b32 s22, 0
                                        ; implicit-def: $vgpr3
.LBB19_55:
	s_and_b32 vcc_lo, exec_lo, s23
	s_cbranch_vccz .LBB19_168
; %bb.56:
	s_cmp_eq_u32 s0, 44
	s_cbranch_scc0 .LBB19_167
; %bb.57:
	global_load_ubyte v3, v[1:2], off
	s_mov_b32 s1, 0
	s_mov_b32 s22, -1
	s_waitcnt vmcnt(0)
	v_lshlrev_b32_e32 v4, 23, v3
	v_cmp_ne_u32_e32 vcc_lo, 0xff, v3
	v_cndmask_b32_e32 v4, 0x7f800001, v4, vcc_lo
	v_cmp_ne_u32_e32 vcc_lo, 0, v3
	v_cndmask_b32_e32 v3, 0x400000, v4, vcc_lo
	s_branch .LBB19_168
.LBB19_58:
	s_mov_b32 s37, -1
	s_mov_b32 s0, 0
	s_mov_b32 s36, 0
.LBB19_59:
	s_and_b32 vcc_lo, exec_lo, s37
	s_cbranch_vccz .LBB19_64
; %bb.60:
	s_cmp_eq_u32 s23, 44
	s_mov_b32 s0, -1
	s_cbranch_scc0 .LBB19_64
; %bb.61:
	v_bfe_u32 v2, v1, 23, 8
	v_mov_b32_e32 v0, 0xff
	s_mov_b32 s36, exec_lo
	v_cmpx_ne_u32_e32 0xff, v2
	s_cbranch_execz .LBB19_63
; %bb.62:
	v_and_b32_e32 v0, 0x400000, v1
	v_and_or_b32 v2, 0x3fffff, v1, v2
	v_cmp_ne_u32_e32 vcc_lo, 0, v0
	v_cmp_ne_u32_e64 s0, 0, v2
	v_lshrrev_b32_e32 v0, 23, v1
	s_and_b32 s0, vcc_lo, s0
	v_cndmask_b32_e64 v2, 0, 1, s0
	v_add_nc_u32_e32 v0, v0, v2
.LBB19_63:
	s_or_b32 exec_lo, exec_lo, s36
	s_mov_b32 s36, -1
	s_mov_b32 s0, 0
	global_store_byte v[3:4], v0, off
.LBB19_64:
	s_mov_b32 s37, 0
.LBB19_65:
	s_and_b32 vcc_lo, exec_lo, s37
	s_cbranch_vccz .LBB19_68
; %bb.66:
	s_cmp_eq_u32 s23, 29
	s_mov_b32 s0, -1
	s_cbranch_scc0 .LBB19_68
; %bb.67:
	v_trunc_f32_e32 v0, v1
	s_mov_b32 s36, -1
	s_mov_b32 s0, 0
	s_mov_b32 s37, 0
	v_mul_f32_e32 v2, 0x2f800000, v0
	v_floor_f32_e32 v2, v2
	v_fmamk_f32 v0, v2, 0xcf800000, v0
	v_cvt_u32_f32_e32 v6, v2
	v_cvt_u32_f32_e32 v5, v0
	global_store_dwordx2 v[3:4], v[5:6], off
	s_branch .LBB19_69
.LBB19_68:
	s_mov_b32 s37, 0
.LBB19_69:
	s_and_b32 vcc_lo, exec_lo, s37
	s_cbranch_vccz .LBB19_85
; %bb.70:
	s_cmp_lt_i32 s23, 27
	s_mov_b32 s36, -1
	s_cbranch_scc1 .LBB19_76
; %bb.71:
	v_cvt_u32_f32_e32 v0, v1
	s_cmp_gt_i32 s23, 27
	s_cbranch_scc0 .LBB19_73
; %bb.72:
	s_mov_b32 s36, 0
	global_store_dword v[3:4], v0, off
.LBB19_73:
	s_andn2_b32 vcc_lo, exec_lo, s36
	s_cbranch_vccnz .LBB19_75
; %bb.74:
	global_store_short v[3:4], v0, off
.LBB19_75:
	s_mov_b32 s36, 0
.LBB19_76:
	s_andn2_b32 vcc_lo, exec_lo, s36
	s_cbranch_vccnz .LBB19_84
; %bb.77:
	v_and_b32_e32 v0, 0x7fffffff, v1
	v_mov_b32_e32 v2, 0x80
	s_mov_b32 s36, exec_lo
	v_cmpx_gt_u32_e32 0x43800000, v0
	s_cbranch_execz .LBB19_83
; %bb.78:
	v_cmp_lt_u32_e32 vcc_lo, 0x3bffffff, v0
	s_mov_b32 s37, 0
                                        ; implicit-def: $vgpr0
	s_and_saveexec_b32 s40, vcc_lo
	s_xor_b32 s40, exec_lo, s40
	s_cbranch_execz .LBB19_331
; %bb.79:
	v_bfe_u32 v0, v1, 20, 1
	s_mov_b32 s37, exec_lo
	v_add3_u32 v0, v1, v0, 0x487ffff
	v_lshrrev_b32_e32 v0, 20, v0
	s_andn2_saveexec_b32 s40, s40
	s_cbranch_execnz .LBB19_332
.LBB19_80:
	s_or_b32 exec_lo, exec_lo, s40
	v_mov_b32_e32 v2, 0
	s_and_saveexec_b32 s40, s37
.LBB19_81:
	v_lshrrev_b32_e32 v2, 24, v1
	v_and_or_b32 v2, 0x80, v2, v0
.LBB19_82:
	s_or_b32 exec_lo, exec_lo, s40
.LBB19_83:
	s_or_b32 exec_lo, exec_lo, s36
	global_store_byte v[3:4], v2, off
.LBB19_84:
	s_mov_b32 s36, -1
.LBB19_85:
	s_mov_b32 s37, 0
.LBB19_86:
	s_and_b32 vcc_lo, exec_lo, s37
	s_cbranch_vccz .LBB19_127
; %bb.87:
	s_cmp_gt_i32 s23, 22
	s_mov_b32 s37, -1
	s_cbranch_scc0 .LBB19_119
; %bb.88:
	s_cmp_lt_i32 s23, 24
	s_mov_b32 s36, -1
	s_cbranch_scc1 .LBB19_108
; %bb.89:
	s_cmp_gt_i32 s23, 24
	s_cbranch_scc0 .LBB19_97
; %bb.90:
	v_and_b32_e32 v0, 0x7fffffff, v1
	v_mov_b32_e32 v2, 0x80
	s_mov_b32 s36, exec_lo
	v_cmpx_gt_u32_e32 0x47800000, v0
	s_cbranch_execz .LBB19_96
; %bb.91:
	v_cmp_lt_u32_e32 vcc_lo, 0x37ffffff, v0
	s_mov_b32 s37, 0
                                        ; implicit-def: $vgpr0
	s_and_saveexec_b32 s40, vcc_lo
	s_xor_b32 s40, exec_lo, s40
	s_cbranch_execz .LBB19_335
; %bb.92:
	v_bfe_u32 v0, v1, 21, 1
	s_mov_b32 s37, exec_lo
	v_add3_u32 v0, v1, v0, 0x88fffff
	v_lshrrev_b32_e32 v0, 21, v0
	s_andn2_saveexec_b32 s40, s40
	s_cbranch_execnz .LBB19_336
.LBB19_93:
	s_or_b32 exec_lo, exec_lo, s40
	v_mov_b32_e32 v2, 0
	s_and_saveexec_b32 s40, s37
.LBB19_94:
	v_lshrrev_b32_e32 v2, 24, v1
	v_and_or_b32 v2, 0x80, v2, v0
.LBB19_95:
	s_or_b32 exec_lo, exec_lo, s40
.LBB19_96:
	s_or_b32 exec_lo, exec_lo, s36
	s_mov_b32 s36, 0
	global_store_byte v[3:4], v2, off
.LBB19_97:
	s_and_b32 vcc_lo, exec_lo, s36
	s_cbranch_vccz .LBB19_107
; %bb.98:
	v_and_b32_e32 v2, 0x7fffffff, v1
	s_mov_b32 s36, exec_lo
                                        ; implicit-def: $vgpr0
	v_cmpx_gt_u32_e32 0x43f00000, v2
	s_xor_b32 s36, exec_lo, s36
	s_cbranch_execz .LBB19_104
; %bb.99:
	s_mov_b32 s37, exec_lo
                                        ; implicit-def: $vgpr0
	v_cmpx_lt_u32_e32 0x3c7fffff, v2
	s_xor_b32 s37, exec_lo, s37
; %bb.100:
	v_bfe_u32 v0, v1, 20, 1
	v_add3_u32 v0, v1, v0, 0x407ffff
	v_and_b32_e32 v2, 0xff00000, v0
	v_lshrrev_b32_e32 v0, 20, v0
	v_cmp_ne_u32_e32 vcc_lo, 0x7f00000, v2
	v_cndmask_b32_e32 v0, 0x7e, v0, vcc_lo
; %bb.101:
	s_andn2_saveexec_b32 s37, s37
; %bb.102:
	v_add_f32_e64 v0, 0x46800000, |v1|
; %bb.103:
	s_or_b32 exec_lo, exec_lo, s37
                                        ; implicit-def: $vgpr2
.LBB19_104:
	s_andn2_saveexec_b32 s36, s36
; %bb.105:
	v_mov_b32_e32 v0, 0x7f
	v_cmp_lt_u32_e32 vcc_lo, 0x7f800000, v2
	v_cndmask_b32_e32 v0, 0x7e, v0, vcc_lo
; %bb.106:
	s_or_b32 exec_lo, exec_lo, s36
	v_lshrrev_b32_e32 v2, 24, v1
	v_and_or_b32 v0, 0x80, v2, v0
	global_store_byte v[3:4], v0, off
.LBB19_107:
	s_mov_b32 s36, 0
.LBB19_108:
	s_andn2_b32 vcc_lo, exec_lo, s36
	s_cbranch_vccnz .LBB19_118
; %bb.109:
	v_and_b32_e32 v2, 0x7fffffff, v1
	s_mov_b32 s36, exec_lo
                                        ; implicit-def: $vgpr0
	v_cmpx_gt_u32_e32 0x47800000, v2
	s_xor_b32 s36, exec_lo, s36
	s_cbranch_execz .LBB19_115
; %bb.110:
	s_mov_b32 s37, exec_lo
                                        ; implicit-def: $vgpr0
	v_cmpx_lt_u32_e32 0x387fffff, v2
	s_xor_b32 s37, exec_lo, s37
; %bb.111:
	v_bfe_u32 v0, v1, 21, 1
	v_add3_u32 v0, v1, v0, 0x80fffff
	v_lshrrev_b32_e32 v0, 21, v0
; %bb.112:
	s_andn2_saveexec_b32 s37, s37
; %bb.113:
	v_add_f32_e64 v0, 0x43000000, |v1|
; %bb.114:
	s_or_b32 exec_lo, exec_lo, s37
                                        ; implicit-def: $vgpr2
.LBB19_115:
	s_andn2_saveexec_b32 s36, s36
; %bb.116:
	v_mov_b32_e32 v0, 0x7f
	v_cmp_lt_u32_e32 vcc_lo, 0x7f800000, v2
	v_cndmask_b32_e32 v0, 0x7c, v0, vcc_lo
; %bb.117:
	s_or_b32 exec_lo, exec_lo, s36
	v_lshrrev_b32_e32 v2, 24, v1
	v_and_or_b32 v0, 0x80, v2, v0
	global_store_byte v[3:4], v0, off
.LBB19_118:
	s_mov_b32 s37, 0
	s_mov_b32 s36, -1
.LBB19_119:
	s_andn2_b32 vcc_lo, exec_lo, s37
	s_cbranch_vccnz .LBB19_127
; %bb.120:
	s_cmp_gt_i32 s23, 14
	s_mov_b32 s37, -1
	s_cbranch_scc0 .LBB19_124
; %bb.121:
	s_cmp_eq_u32 s23, 15
	s_mov_b32 s0, -1
	s_cbranch_scc0 .LBB19_123
; %bb.122:
	v_bfe_u32 v0, v1, 16, 1
	v_cmp_o_f32_e32 vcc_lo, v1, v1
	v_mov_b32_e32 v2, 0x7fc0
	s_mov_b32 s36, -1
	s_mov_b32 s0, 0
	v_add3_u32 v0, v1, v0, 0x7fff
	v_cndmask_b32_sdwa v0, v2, v0, vcc_lo dst_sel:DWORD dst_unused:UNUSED_PAD src0_sel:DWORD src1_sel:WORD_1
	global_store_short v[3:4], v0, off
.LBB19_123:
	s_mov_b32 s37, 0
.LBB19_124:
	s_and_b32 vcc_lo, exec_lo, s37
	s_cbranch_vccz .LBB19_127
; %bb.125:
	s_cmp_eq_u32 s23, 11
	s_mov_b32 s0, -1
	s_cbranch_scc0 .LBB19_127
; %bb.126:
	v_cmp_neq_f32_e32 vcc_lo, 0, v1
	s_mov_b32 s0, 0
	s_mov_b32 s36, -1
	v_cndmask_b32_e64 v0, 0, 1, vcc_lo
	global_store_byte v[3:4], v0, off
.LBB19_127:
	s_branch .LBB19_46
.LBB19_128:
	s_and_b32 s22, 0xffff, s22
	s_mov_b32 s23, -1
	s_cmp_lt_i32 s22, 5
	s_cbranch_scc1 .LBB19_149
; %bb.129:
	s_cmp_lt_i32 s22, 8
	s_cbranch_scc1 .LBB19_139
; %bb.130:
	;; [unrolled: 3-line block ×3, first 2 shown]
	s_cmp_gt_i32 s22, 9
	s_cbranch_scc0 .LBB19_133
; %bb.132:
	v_cvt_f64_f32_e32 v[9:10], v1
	v_mov_b32_e32 v11, 0
	s_mov_b32 s23, 0
	v_mov_b32_e32 v12, v11
	global_store_dwordx4 v[3:4], v[9:12], off
.LBB19_133:
	s_andn2_b32 vcc_lo, exec_lo, s23
	s_cbranch_vccnz .LBB19_135
; %bb.134:
	v_mov_b32_e32 v2, 0
	global_store_dwordx2 v[3:4], v[1:2], off
.LBB19_135:
	s_mov_b32 s23, 0
.LBB19_136:
	s_andn2_b32 vcc_lo, exec_lo, s23
	s_cbranch_vccnz .LBB19_138
; %bb.137:
	v_cvt_f16_f32_e32 v0, v1
	v_and_b32_e32 v0, 0xffff, v0
	global_store_dword v[3:4], v0, off
.LBB19_138:
	s_mov_b32 s23, 0
.LBB19_139:
	s_andn2_b32 vcc_lo, exec_lo, s23
	s_cbranch_vccnz .LBB19_148
; %bb.140:
	s_cmp_lt_i32 s22, 6
	s_mov_b32 s23, -1
	s_cbranch_scc1 .LBB19_146
; %bb.141:
	s_cmp_gt_i32 s22, 6
	s_cbranch_scc0 .LBB19_143
; %bb.142:
	v_cvt_f64_f32_e32 v[5:6], v1
	s_mov_b32 s23, 0
	global_store_dwordx2 v[3:4], v[5:6], off
.LBB19_143:
	s_andn2_b32 vcc_lo, exec_lo, s23
	s_cbranch_vccnz .LBB19_145
; %bb.144:
	global_store_dword v[3:4], v1, off
.LBB19_145:
	s_mov_b32 s23, 0
.LBB19_146:
	s_andn2_b32 vcc_lo, exec_lo, s23
	s_cbranch_vccnz .LBB19_148
; %bb.147:
	v_cvt_f16_f32_e32 v0, v1
	global_store_short v[3:4], v0, off
.LBB19_148:
	s_mov_b32 s23, 0
.LBB19_149:
	s_andn2_b32 vcc_lo, exec_lo, s23
	s_cbranch_vccnz .LBB19_165
; %bb.150:
	s_cmp_lt_i32 s22, 2
	s_mov_b32 s23, -1
	s_cbranch_scc1 .LBB19_160
; %bb.151:
	s_cmp_lt_i32 s22, 3
	s_cbranch_scc1 .LBB19_157
; %bb.152:
	s_cmp_gt_i32 s22, 3
	s_cbranch_scc0 .LBB19_154
; %bb.153:
	v_trunc_f32_e32 v0, v1
	s_mov_b32 s23, 0
	v_mul_f32_e64 v2, 0x2f800000, |v0|
	v_floor_f32_e32 v2, v2
	v_fma_f32 v5, 0xcf800000, v2, |v0|
	v_ashrrev_i32_e32 v0, 31, v0
	v_cvt_u32_f32_e32 v2, v2
	v_cvt_u32_f32_e32 v5, v5
	v_xor_b32_e32 v2, v2, v0
	v_xor_b32_e32 v5, v5, v0
	v_sub_co_u32 v5, vcc_lo, v5, v0
	v_sub_co_ci_u32_e64 v6, null, v2, v0, vcc_lo
	global_store_dwordx2 v[3:4], v[5:6], off
.LBB19_154:
	s_andn2_b32 vcc_lo, exec_lo, s23
	s_cbranch_vccnz .LBB19_156
; %bb.155:
	v_cvt_i32_f32_e32 v0, v1
	global_store_dword v[3:4], v0, off
.LBB19_156:
	s_mov_b32 s23, 0
.LBB19_157:
	s_andn2_b32 vcc_lo, exec_lo, s23
	s_cbranch_vccnz .LBB19_159
; %bb.158:
	v_cvt_i32_f32_e32 v0, v1
	global_store_short v[3:4], v0, off
.LBB19_159:
	s_mov_b32 s23, 0
.LBB19_160:
	s_andn2_b32 vcc_lo, exec_lo, s23
	s_cbranch_vccnz .LBB19_165
; %bb.161:
	s_cmp_gt_i32 s22, 0
	s_mov_b32 s22, -1
	s_cbranch_scc0 .LBB19_163
; %bb.162:
	v_cvt_i32_f32_e32 v0, v1
	s_mov_b32 s22, 0
	global_store_byte v[3:4], v0, off
.LBB19_163:
	s_andn2_b32 vcc_lo, exec_lo, s22
	s_cbranch_vccnz .LBB19_165
; %bb.164:
	v_trunc_f32_e32 v0, v1
	v_mul_f32_e64 v1, 0x2f800000, |v0|
	v_floor_f32_e32 v1, v1
	v_fma_f32 v1, 0xcf800000, v1, |v0|
	v_ashrrev_i32_e32 v0, 31, v0
	v_cvt_u32_f32_e32 v1, v1
	v_xor_b32_e32 v1, v1, v0
	v_sub_nc_u32_e32 v0, v1, v0
	global_store_byte v[3:4], v0, off
.LBB19_165:
.LBB19_166:
	v_add_nc_u32_e32 v8, 0x80, v8
	s_mov_b32 s22, -1
	s_branch .LBB19_277
.LBB19_167:
	s_mov_b32 s1, -1
                                        ; implicit-def: $vgpr3
.LBB19_168:
	s_mov_b32 s23, 0
.LBB19_169:
	s_and_b32 vcc_lo, exec_lo, s23
	s_cbranch_vccz .LBB19_173
; %bb.170:
	s_cmp_eq_u32 s0, 29
	s_cbranch_scc0 .LBB19_172
; %bb.171:
	global_load_dwordx2 v[3:4], v[1:2], off
	s_mov_b32 s22, -1
	s_mov_b32 s1, 0
	s_mov_b32 s23, 0
	s_waitcnt vmcnt(0)
	v_ffbh_u32_e32 v5, v4
	v_min_u32_e32 v5, 32, v5
	v_lshlrev_b64 v[3:4], v5, v[3:4]
	v_min_u32_e32 v3, 1, v3
	v_or_b32_e32 v3, v4, v3
	v_sub_nc_u32_e32 v4, 32, v5
	v_cvt_f32_u32_e32 v3, v3
	v_ldexp_f32 v3, v3, v4
	s_branch .LBB19_174
.LBB19_172:
	s_mov_b32 s1, -1
                                        ; implicit-def: $vgpr3
.LBB19_173:
	s_mov_b32 s23, 0
.LBB19_174:
	s_and_b32 vcc_lo, exec_lo, s23
	s_cbranch_vccz .LBB19_192
; %bb.175:
	s_cmp_lt_i32 s0, 27
	s_cbranch_scc1 .LBB19_178
; %bb.176:
	s_cmp_gt_i32 s0, 27
	s_cbranch_scc0 .LBB19_179
; %bb.177:
	global_load_dword v3, v[1:2], off
	s_mov_b32 s22, 0
	s_waitcnt vmcnt(0)
	v_cvt_f32_u32_e32 v3, v3
	s_branch .LBB19_180
.LBB19_178:
	s_mov_b32 s22, -1
                                        ; implicit-def: $vgpr3
	s_branch .LBB19_183
.LBB19_179:
	s_mov_b32 s22, -1
                                        ; implicit-def: $vgpr3
.LBB19_180:
	s_andn2_b32 vcc_lo, exec_lo, s22
	s_cbranch_vccnz .LBB19_182
; %bb.181:
	global_load_ushort v3, v[1:2], off
	s_waitcnt vmcnt(0)
	v_cvt_f32_u32_e32 v3, v3
.LBB19_182:
	s_mov_b32 s22, 0
.LBB19_183:
	s_andn2_b32 vcc_lo, exec_lo, s22
	s_cbranch_vccnz .LBB19_191
; %bb.184:
	global_load_ubyte v4, v[1:2], off
	s_mov_b32 s22, 0
	s_mov_b32 s23, exec_lo
	s_waitcnt vmcnt(0)
	v_cmpx_lt_i16_e32 0x7f, v4
	s_xor_b32 s23, exec_lo, s23
	s_cbranch_execz .LBB19_204
; %bb.185:
	s_mov_b32 s22, -1
	s_mov_b32 s36, exec_lo
	v_cmpx_eq_u16_e32 0x80, v4
; %bb.186:
	s_xor_b32 s22, exec_lo, -1
; %bb.187:
	s_or_b32 exec_lo, exec_lo, s36
	s_and_b32 s22, s22, exec_lo
	s_or_saveexec_b32 s23, s23
	v_mov_b32_e32 v3, 0x7f800001
	s_xor_b32 exec_lo, exec_lo, s23
	s_cbranch_execnz .LBB19_205
.LBB19_188:
	s_or_b32 exec_lo, exec_lo, s23
	s_and_saveexec_b32 s23, s22
	s_cbranch_execz .LBB19_190
.LBB19_189:
	v_and_b32_e32 v3, 0xffff, v4
	v_lshlrev_b32_e32 v4, 24, v4
	v_and_b32_e32 v5, 7, v3
	v_bfe_u32 v9, v3, 3, 4
	v_and_b32_e32 v4, 0x80000000, v4
	v_ffbh_u32_e32 v6, v5
	v_cmp_eq_u32_e32 vcc_lo, 0, v9
	v_min_u32_e32 v6, 32, v6
	v_subrev_nc_u32_e32 v7, 28, v6
	v_sub_nc_u32_e32 v6, 29, v6
	v_lshlrev_b32_e32 v3, v7, v3
	v_cndmask_b32_e32 v6, v9, v6, vcc_lo
	v_and_b32_e32 v3, 7, v3
	v_cndmask_b32_e32 v3, v5, v3, vcc_lo
	v_lshl_add_u32 v5, v6, 23, 0x3b800000
	v_lshlrev_b32_e32 v3, 20, v3
	v_or3_b32 v3, v4, v5, v3
.LBB19_190:
	s_or_b32 exec_lo, exec_lo, s23
.LBB19_191:
	s_mov_b32 s22, -1
.LBB19_192:
	s_branch .LBB19_227
.LBB19_193:
	s_cmp_gt_i32 s0, 22
	s_cbranch_scc0 .LBB19_203
; %bb.194:
	s_cmp_lt_i32 s0, 24
	s_cbranch_scc1 .LBB19_206
; %bb.195:
	s_cmp_gt_i32 s0, 24
	s_cbranch_scc0 .LBB19_207
; %bb.196:
	global_load_ubyte v4, v[1:2], off
	s_mov_b32 s22, 0
	s_mov_b32 s23, exec_lo
	s_waitcnt vmcnt(0)
	v_cmpx_lt_i16_e32 0x7f, v4
	s_xor_b32 s23, exec_lo, s23
	s_cbranch_execz .LBB19_219
; %bb.197:
	s_mov_b32 s22, -1
	s_mov_b32 s36, exec_lo
	v_cmpx_eq_u16_e32 0x80, v4
; %bb.198:
	s_xor_b32 s22, exec_lo, -1
; %bb.199:
	s_or_b32 exec_lo, exec_lo, s36
	s_and_b32 s22, s22, exec_lo
	s_or_saveexec_b32 s23, s23
	v_mov_b32_e32 v3, 0x7f800001
	s_xor_b32 exec_lo, exec_lo, s23
	s_cbranch_execnz .LBB19_220
.LBB19_200:
	s_or_b32 exec_lo, exec_lo, s23
	s_and_saveexec_b32 s23, s22
	s_cbranch_execz .LBB19_202
.LBB19_201:
	v_and_b32_e32 v3, 0xffff, v4
	v_lshlrev_b32_e32 v4, 24, v4
	v_and_b32_e32 v5, 3, v3
	v_bfe_u32 v9, v3, 2, 5
	v_and_b32_e32 v4, 0x80000000, v4
	v_ffbh_u32_e32 v6, v5
	v_cmp_eq_u32_e32 vcc_lo, 0, v9
	v_min_u32_e32 v6, 32, v6
	v_subrev_nc_u32_e32 v7, 29, v6
	v_sub_nc_u32_e32 v6, 30, v6
	v_lshlrev_b32_e32 v3, v7, v3
	v_cndmask_b32_e32 v6, v9, v6, vcc_lo
	v_and_b32_e32 v3, 3, v3
	v_cndmask_b32_e32 v3, v5, v3, vcc_lo
	v_lshl_add_u32 v5, v6, 23, 0x37800000
	v_lshlrev_b32_e32 v3, 21, v3
	v_or3_b32 v3, v4, v5, v3
.LBB19_202:
	s_or_b32 exec_lo, exec_lo, s23
	s_mov_b32 s22, 0
	s_branch .LBB19_208
.LBB19_203:
	s_mov_b32 s23, -1
                                        ; implicit-def: $vgpr3
	s_branch .LBB19_214
.LBB19_204:
	s_or_saveexec_b32 s23, s23
	v_mov_b32_e32 v3, 0x7f800001
	s_xor_b32 exec_lo, exec_lo, s23
	s_cbranch_execz .LBB19_188
.LBB19_205:
	v_cmp_ne_u16_e32 vcc_lo, 0, v4
	v_mov_b32_e32 v3, 0
	s_andn2_b32 s22, s22, exec_lo
	s_and_b32 s36, vcc_lo, exec_lo
	s_or_b32 s22, s22, s36
	s_or_b32 exec_lo, exec_lo, s23
	s_and_saveexec_b32 s23, s22
	s_cbranch_execnz .LBB19_189
	s_branch .LBB19_190
.LBB19_206:
	s_mov_b32 s22, -1
                                        ; implicit-def: $vgpr3
	s_branch .LBB19_211
.LBB19_207:
	s_mov_b32 s22, -1
                                        ; implicit-def: $vgpr3
.LBB19_208:
	s_and_b32 vcc_lo, exec_lo, s22
	s_cbranch_vccz .LBB19_210
; %bb.209:
	global_load_ubyte v3, v[1:2], off
	s_waitcnt vmcnt(0)
	v_lshlrev_b32_e32 v3, 24, v3
	v_and_b32_e32 v4, 0x7f000000, v3
	v_ffbh_u32_e32 v5, v4
	v_add_nc_u32_e32 v7, 0x1000000, v4
	v_cmp_ne_u32_e32 vcc_lo, 0, v4
	v_min_u32_e32 v5, 32, v5
	v_sub_nc_u32_e64 v5, v5, 4 clamp
	v_lshlrev_b32_e32 v6, v5, v4
	v_lshlrev_b32_e32 v5, 23, v5
	v_lshrrev_b32_e32 v6, 4, v6
	v_sub_nc_u32_e32 v5, v6, v5
	v_ashrrev_i32_e32 v6, 8, v7
	v_add_nc_u32_e32 v5, 0x3c000000, v5
	v_and_or_b32 v5, 0x7f800000, v6, v5
	v_cndmask_b32_e32 v4, 0, v5, vcc_lo
	v_and_or_b32 v3, 0x80000000, v3, v4
.LBB19_210:
	s_mov_b32 s22, 0
.LBB19_211:
	s_andn2_b32 vcc_lo, exec_lo, s22
	s_cbranch_vccnz .LBB19_213
; %bb.212:
	global_load_ubyte v3, v[1:2], off
	s_waitcnt vmcnt(0)
	v_lshlrev_b32_e32 v4, 25, v3
	v_lshlrev_b16 v3, 8, v3
	v_lshrrev_b32_e32 v5, 4, v4
	v_and_or_b32 v6, 0x7f00, v3, 0.5
	v_cmp_gt_u32_e32 vcc_lo, 0x8000000, v4
	v_bfe_i32 v3, v3, 0, 16
	v_or_b32_e32 v5, 0x70000000, v5
	v_add_f32_e32 v6, -0.5, v6
	v_mul_f32_e32 v5, 0x7800000, v5
	v_cndmask_b32_e32 v4, v5, v6, vcc_lo
	v_and_or_b32 v3, 0x80000000, v3, v4
.LBB19_213:
	s_mov_b32 s23, 0
	s_mov_b32 s22, -1
.LBB19_214:
	s_andn2_b32 vcc_lo, exec_lo, s23
	s_cbranch_vccnz .LBB19_227
; %bb.215:
	s_cmp_gt_i32 s0, 14
	s_cbranch_scc0 .LBB19_218
; %bb.216:
	s_cmp_eq_u32 s0, 15
	s_cbranch_scc0 .LBB19_221
; %bb.217:
	global_load_ushort v3, v[1:2], off
	s_mov_b32 s22, -1
	s_mov_b32 s1, 0
	s_waitcnt vmcnt(0)
	v_lshlrev_b32_e32 v3, 16, v3
	s_branch .LBB19_222
.LBB19_218:
	s_mov_b32 s23, -1
                                        ; implicit-def: $vgpr3
	s_branch .LBB19_223
.LBB19_219:
	s_or_saveexec_b32 s23, s23
	v_mov_b32_e32 v3, 0x7f800001
	s_xor_b32 exec_lo, exec_lo, s23
	s_cbranch_execz .LBB19_200
.LBB19_220:
	v_cmp_ne_u16_e32 vcc_lo, 0, v4
	v_mov_b32_e32 v3, 0
	s_andn2_b32 s22, s22, exec_lo
	s_and_b32 s36, vcc_lo, exec_lo
	s_or_b32 s22, s22, s36
	s_or_b32 exec_lo, exec_lo, s23
	s_and_saveexec_b32 s23, s22
	s_cbranch_execnz .LBB19_201
	s_branch .LBB19_202
.LBB19_221:
	s_mov_b32 s1, -1
                                        ; implicit-def: $vgpr3
.LBB19_222:
	s_mov_b32 s23, 0
.LBB19_223:
	s_and_b32 vcc_lo, exec_lo, s23
	s_cbranch_vccz .LBB19_227
; %bb.224:
	s_cmp_eq_u32 s0, 11
	s_cbranch_scc0 .LBB19_226
; %bb.225:
	global_load_ubyte v3, v[1:2], off
	s_mov_b32 s1, 0
	s_mov_b32 s22, -1
	s_waitcnt vmcnt(0)
	v_cmp_ne_u16_e32 vcc_lo, 0, v3
	v_cndmask_b32_e64 v3, 0, 1.0, vcc_lo
	s_branch .LBB19_227
.LBB19_226:
	s_mov_b32 s1, -1
                                        ; implicit-def: $vgpr3
.LBB19_227:
	s_branch .LBB19_24
.LBB19_228:
	s_cmp_lt_i32 s0, 5
	s_cbranch_scc1 .LBB19_233
; %bb.229:
	s_cmp_lt_i32 s0, 8
	s_cbranch_scc1 .LBB19_234
; %bb.230:
	;; [unrolled: 3-line block ×3, first 2 shown]
	s_cmp_gt_i32 s0, 9
	s_cbranch_scc0 .LBB19_236
; %bb.232:
	global_load_dwordx2 v[3:4], v[1:2], off
	s_mov_b32 s22, 0
	s_waitcnt vmcnt(0)
	v_cvt_f32_f64_e32 v3, v[3:4]
	s_branch .LBB19_237
.LBB19_233:
                                        ; implicit-def: $vgpr3
	s_branch .LBB19_255
.LBB19_234:
	s_mov_b32 s22, -1
                                        ; implicit-def: $vgpr3
	s_branch .LBB19_243
.LBB19_235:
	s_mov_b32 s22, -1
                                        ; implicit-def: $vgpr3
	s_branch .LBB19_240
.LBB19_236:
	s_mov_b32 s22, -1
                                        ; implicit-def: $vgpr3
.LBB19_237:
	s_andn2_b32 vcc_lo, exec_lo, s22
	s_cbranch_vccnz .LBB19_239
; %bb.238:
	global_load_dword v3, v[1:2], off
.LBB19_239:
	s_mov_b32 s22, 0
.LBB19_240:
	s_andn2_b32 vcc_lo, exec_lo, s22
	s_cbranch_vccnz .LBB19_242
; %bb.241:
	global_load_dword v3, v[1:2], off
	s_waitcnt vmcnt(0)
	v_cvt_f32_f16_e32 v3, v3
.LBB19_242:
	s_mov_b32 s22, 0
.LBB19_243:
	s_andn2_b32 vcc_lo, exec_lo, s22
	s_cbranch_vccnz .LBB19_254
; %bb.244:
	s_cmp_lt_i32 s0, 6
	s_cbranch_scc1 .LBB19_247
; %bb.245:
	s_cmp_gt_i32 s0, 6
	s_cbranch_scc0 .LBB19_248
; %bb.246:
	global_load_dwordx2 v[3:4], v[1:2], off
	s_mov_b32 s22, 0
	s_waitcnt vmcnt(0)
	v_cvt_f32_f64_e32 v3, v[3:4]
	s_branch .LBB19_249
.LBB19_247:
	s_mov_b32 s22, -1
                                        ; implicit-def: $vgpr3
	s_branch .LBB19_252
.LBB19_248:
	s_mov_b32 s22, -1
                                        ; implicit-def: $vgpr3
.LBB19_249:
	s_andn2_b32 vcc_lo, exec_lo, s22
	s_cbranch_vccnz .LBB19_251
; %bb.250:
	global_load_dword v3, v[1:2], off
.LBB19_251:
	s_mov_b32 s22, 0
.LBB19_252:
	s_andn2_b32 vcc_lo, exec_lo, s22
	s_cbranch_vccnz .LBB19_254
; %bb.253:
	global_load_ushort v3, v[1:2], off
	s_waitcnt vmcnt(0)
	v_cvt_f32_f16_e32 v3, v3
.LBB19_254:
	s_cbranch_execnz .LBB19_274
.LBB19_255:
	s_cmp_lt_i32 s0, 2
	s_cbranch_scc1 .LBB19_259
; %bb.256:
	s_cmp_lt_i32 s0, 3
	s_cbranch_scc1 .LBB19_260
; %bb.257:
	s_cmp_gt_i32 s0, 3
	s_cbranch_scc0 .LBB19_261
; %bb.258:
	global_load_dwordx2 v[3:4], v[1:2], off
	s_mov_b32 s22, 0
	s_waitcnt vmcnt(0)
	v_xor_b32_e32 v5, v3, v4
	v_ffbh_i32_e32 v6, v4
	v_ashrrev_i32_e32 v5, 31, v5
	v_add_nc_u32_e32 v6, -1, v6
	v_add_nc_u32_e32 v5, 32, v5
	v_min_u32_e32 v5, v6, v5
	v_lshlrev_b64 v[3:4], v5, v[3:4]
	v_min_u32_e32 v3, 1, v3
	v_or_b32_e32 v3, v4, v3
	v_sub_nc_u32_e32 v4, 32, v5
	v_cvt_f32_i32_e32 v3, v3
	v_ldexp_f32 v3, v3, v4
	s_branch .LBB19_262
.LBB19_259:
	s_mov_b32 s22, -1
                                        ; implicit-def: $vgpr3
	s_branch .LBB19_268
.LBB19_260:
	s_mov_b32 s22, -1
                                        ; implicit-def: $vgpr3
	s_branch .LBB19_265
.LBB19_261:
	s_mov_b32 s22, -1
                                        ; implicit-def: $vgpr3
.LBB19_262:
	s_andn2_b32 vcc_lo, exec_lo, s22
	s_cbranch_vccnz .LBB19_264
; %bb.263:
	global_load_dword v3, v[1:2], off
	s_waitcnt vmcnt(0)
	v_cvt_f32_i32_e32 v3, v3
.LBB19_264:
	s_mov_b32 s22, 0
.LBB19_265:
	s_andn2_b32 vcc_lo, exec_lo, s22
	s_cbranch_vccnz .LBB19_267
; %bb.266:
	global_load_sshort v3, v[1:2], off
	s_waitcnt vmcnt(0)
	v_cvt_f32_i32_e32 v3, v3
.LBB19_267:
	s_mov_b32 s22, 0
.LBB19_268:
	s_andn2_b32 vcc_lo, exec_lo, s22
	s_cbranch_vccnz .LBB19_274
; %bb.269:
	s_cmp_gt_i32 s0, 0
	s_mov_b32 s0, 0
	s_cbranch_scc0 .LBB19_271
; %bb.270:
	global_load_sbyte v3, v[1:2], off
	s_waitcnt vmcnt(0)
	v_cvt_f32_i32_e32 v3, v3
	s_branch .LBB19_272
.LBB19_271:
	s_mov_b32 s0, -1
                                        ; implicit-def: $vgpr3
.LBB19_272:
	s_andn2_b32 vcc_lo, exec_lo, s0
	s_cbranch_vccnz .LBB19_274
; %bb.273:
	global_load_ubyte v1, v[1:2], off
	s_waitcnt vmcnt(0)
	v_cvt_f32_ubyte0_e32 v3, v1
.LBB19_274:
	s_branch .LBB19_25
.LBB19_275:
	s_mov_b32 s0, 0
.LBB19_276:
	s_mov_b32 s22, 0
                                        ; implicit-def: $vgpr8
.LBB19_277:
	s_and_b32 s36, s0, exec_lo
	s_and_b32 s37, s1, exec_lo
	s_orn2_b32 s1, s22, exec_lo
.LBB19_278:
	s_or_b32 exec_lo, exec_lo, s38
	s_mov_b32 s22, 0
	s_mov_b32 s0, 0
                                        ; implicit-def: $vgpr1_vgpr2
                                        ; implicit-def: $vgpr0
                                        ; implicit-def: $vgpr5
	s_and_saveexec_b32 s38, s1
	s_cbranch_execz .LBB19_285
; %bb.279:
	s_mov_b32 s0, -1
	s_mov_b32 s39, s37
	s_mov_b32 s40, s36
	s_mov_b32 s41, exec_lo
	v_cmpx_gt_i32_e64 s33, v8
	s_cbranch_execz .LBB19_567
; %bb.280:
	s_andn2_b32 vcc_lo, exec_lo, s27
	s_cbranch_vccnz .LBB19_288
; %bb.281:
	s_andn2_b32 vcc_lo, exec_lo, s34
	s_cbranch_vccnz .LBB19_289
; %bb.282:
	s_add_i32 s40, s35, 1
	s_cmp_eq_u32 s25, 2
	s_cbranch_scc1 .LBB19_290
; %bb.283:
	v_mov_b32_e32 v2, 0
	v_mov_b32_e32 v0, 0
	;; [unrolled: 1-line block ×3, first 2 shown]
	s_and_b32 s39, s40, 28
	s_mov_b32 s42, 0
	s_mov_b64 s[0:1], s[2:3]
	s_mov_b64 s[22:23], s[20:21]
.LBB19_284:                             ; =>This Inner Loop Header: Depth=1
	s_clause 0x1
	s_load_dwordx8 s[44:51], s[0:1], 0x4
	s_load_dwordx4 s[60:63], s[0:1], 0x24
	s_load_dwordx8 s[52:59], s[22:23], 0x0
	s_add_u32 s0, s0, 48
	s_addc_u32 s1, s1, 0
	s_add_i32 s42, s42, 4
	s_add_u32 s22, s22, 32
	s_addc_u32 s23, s23, 0
	s_cmp_eq_u32 s39, s42
	s_waitcnt vmcnt(0) lgkmcnt(0)
	v_mul_hi_u32 v3, s45, v1
	v_add_nc_u32_e32 v3, v1, v3
	v_lshrrev_b32_e32 v3, s46, v3
	v_mul_hi_u32 v4, s48, v3
	v_mul_lo_u32 v6, v3, s44
	v_add_nc_u32_e32 v4, v3, v4
	v_sub_nc_u32_e32 v1, v1, v6
	v_lshrrev_b32_e32 v4, s49, v4
	v_mul_lo_u32 v6, v1, s52
	v_mul_lo_u32 v9, v1, s53
	v_mul_hi_u32 v5, s51, v4
	v_add_nc_u32_e32 v5, v4, v5
	v_lshrrev_b32_e32 v5, s60, v5
	v_mul_hi_u32 v7, s62, v5
	v_mul_lo_u32 v10, v5, s50
	v_add_nc_u32_e32 v1, v5, v7
	v_mul_lo_u32 v7, v4, s47
	v_sub_nc_u32_e32 v4, v4, v10
	v_lshrrev_b32_e32 v1, s63, v1
	v_mul_lo_u32 v10, v4, s56
	v_mul_lo_u32 v4, v4, s57
	v_sub_nc_u32_e32 v3, v3, v7
	v_mul_lo_u32 v11, v1, s61
	v_mul_lo_u32 v7, v3, s54
	;; [unrolled: 1-line block ×3, first 2 shown]
	v_sub_nc_u32_e32 v5, v5, v11
	v_add3_u32 v0, v6, v0, v7
	v_mul_lo_u32 v11, v5, s58
	v_mul_lo_u32 v5, v5, s59
	v_add3_u32 v2, v9, v2, v3
	v_add3_u32 v0, v10, v0, v11
	;; [unrolled: 1-line block ×3, first 2 shown]
	s_cbranch_scc0 .LBB19_284
	s_branch .LBB19_291
.LBB19_285:
	s_or_b32 exec_lo, exec_lo, s38
	s_mov_b32 s1, 0
	s_waitcnt lgkmcnt(0)
	s_and_saveexec_b32 s6, s37
	s_cbranch_execnz .LBB19_957
.LBB19_286:
	s_or_b32 exec_lo, exec_lo, s6
	s_and_saveexec_b32 s6, s39
	s_xor_b32 s6, exec_lo, s6
	s_cbranch_execz .LBB19_958
.LBB19_287:
	global_load_ubyte v3, v[1:2], off
	s_or_b32 s0, s0, exec_lo
	s_waitcnt vmcnt(0)
	v_cmp_ne_u16_e32 vcc_lo, 0, v3
	v_cndmask_b32_e64 v5, 0, 1.0, vcc_lo
	s_or_b32 exec_lo, exec_lo, s6
	s_and_saveexec_b32 s6, s22
	s_cbranch_execz .LBB19_1004
	s_branch .LBB19_959
.LBB19_288:
                                        ; implicit-def: $vgpr0
                                        ; implicit-def: $vgpr2
	s_andn2_b32 vcc_lo, exec_lo, s0
	s_cbranch_vccz .LBB19_295
	s_branch .LBB19_297
.LBB19_289:
	v_mov_b32_e32 v0, 0
	v_mov_b32_e32 v2, 0
	s_branch .LBB19_294
.LBB19_290:
	v_mov_b32_e32 v0, 0
	v_mov_b32_e32 v2, 0
	;; [unrolled: 1-line block ×3, first 2 shown]
	s_mov_b32 s39, 0
.LBB19_291:
	s_and_b32 s40, s40, 3
	s_cmp_eq_u32 s40, 0
	s_cbranch_scc1 .LBB19_294
; %bb.292:
	s_lshl_b32 s0, s39, 3
	s_mul_i32 s22, s39, 12
	s_add_u32 s0, s2, s0
	s_addc_u32 s1, s3, 0
	s_add_u32 s0, s0, 0xc4
	s_addc_u32 s1, s1, 0
	;; [unrolled: 2-line block ×3, first 2 shown]
	.p2align	6
.LBB19_293:                             ; =>This Inner Loop Header: Depth=1
	s_clause 0x1
	s_load_dwordx2 s[42:43], s[22:23], 0x4
	s_load_dword s39, s[22:23], 0xc
	s_load_dwordx2 s[44:45], s[0:1], 0x0
	s_add_u32 s22, s22, 12
	s_addc_u32 s23, s23, 0
	s_add_u32 s0, s0, 8
	s_addc_u32 s1, s1, 0
	s_add_i32 s40, s40, -1
	s_cmp_lg_u32 s40, 0
	s_waitcnt vmcnt(0) lgkmcnt(0)
	v_mul_hi_u32 v3, s43, v1
	v_add_nc_u32_e32 v3, v1, v3
	v_lshrrev_b32_e32 v4, s39, v3
	v_mul_lo_u32 v3, v4, s42
	v_sub_nc_u32_e32 v3, v1, v3
	v_mad_u64_u32 v[0:1], null, v3, s44, v[0:1]
	v_mad_u64_u32 v[2:3], null, v3, s45, v[2:3]
	v_mov_b32_e32 v1, v4
	s_cbranch_scc1 .LBB19_293
.LBB19_294:
	s_cbranch_execnz .LBB19_297
.LBB19_295:
	s_waitcnt lgkmcnt(0)
	v_mul_hi_u32 v0, s17, v8
	s_andn2_b32 vcc_lo, exec_lo, s31
	v_add_nc_u32_e32 v0, v8, v0
	v_lshrrev_b32_e32 v1, s18, v0
	v_mul_lo_u32 v0, v1, s16
	v_sub_nc_u32_e32 v2, v8, v0
	v_mul_lo_u32 v0, v2, s12
	v_mul_lo_u32 v2, v2, s13
	s_cbranch_vccnz .LBB19_297
; %bb.296:
	s_waitcnt vmcnt(0)
	v_mul_hi_u32 v3, s6, v1
	v_add_nc_u32_e32 v3, v1, v3
	v_lshrrev_b32_e32 v3, s7, v3
	v_mul_lo_u32 v3, v3, s19
	v_sub_nc_u32_e32 v3, v1, v3
	v_mad_u64_u32 v[0:1], null, v3, s14, v[0:1]
	v_mad_u64_u32 v[2:3], null, v3, s15, v[2:3]
.LBB19_297:
	s_waitcnt lgkmcnt(0)
	v_add_co_u32 v1, s0, s10, v2
	v_add_co_ci_u32_e64 v2, null, s11, 0, s0
	s_and_b32 s0, 0xffff, s30
	s_cmp_lt_i32 s0, 11
	s_cbranch_scc1 .LBB19_304
; %bb.298:
	s_cmp_gt_i32 s0, 25
	s_cbranch_scc0 .LBB19_325
; %bb.299:
	s_cmp_gt_i32 s0, 28
	s_cbranch_scc0 .LBB19_327
; %bb.300:
	s_cmp_gt_i32 s0, 43
	s_cbranch_scc0 .LBB19_329
; %bb.301:
	s_cmp_gt_i32 s0, 45
	s_cbranch_scc0 .LBB19_333
; %bb.302:
	s_cmp_eq_u32 s0, 46
	s_mov_b32 s23, 0
	s_cbranch_scc0 .LBB19_337
; %bb.303:
	global_load_dword v3, v[1:2], off
	s_mov_b32 s22, -1
	s_mov_b32 s1, 0
	s_waitcnt vmcnt(0)
	v_lshlrev_b32_e32 v3, 16, v3
	s_branch .LBB19_339
.LBB19_304:
	s_mov_b32 s22, 0
	s_mov_b32 s1, s37
                                        ; implicit-def: $vgpr3
	s_cbranch_execnz .LBB19_516
.LBB19_305:
	s_andn2_b32 vcc_lo, exec_lo, s22
	s_cbranch_vccnz .LBB19_564
.LBB19_306:
	s_mov_b32 s22, exec_lo
                                        ; implicit-def: $vgpr1
	s_waitcnt vmcnt(0)
	v_cmpx_ge_f32_e64 0x41000000, |v3|
	s_xor_b32 s22, exec_lo, s22
	s_cbranch_execz .LBB19_312
; %bb.307:
	v_fma_f32 v1, |v3|, 0.5, -2.0
	s_mov_b32 s0, 0x224cf950
	v_mul_f32_e64 v5, 0x3fb8aa3b, |v3|
	v_cmp_ngt_f32_e64 vcc_lo, 0xc2ce8ed0, |v3|
	v_fmaak_f32 v2, s0, v1, 0xa3c2be86
	v_cmp_nlt_f32_e64 s0, 0x42b17218, |v3|
	v_rndne_f32_e32 v6, v5
	v_fma_f32 v7, 0x3fb8aa3b, |v3|, -v5
	v_fmaak_f32 v4, v1, v2, 0xa24cf950
	v_sub_f32_e32 v5, v5, v6
	v_fma_f32 v7, 0x32a5705f, |v3|, v7
	v_add_f32_e32 v4, 0x25331f1f, v4
	v_add_f32_e32 v5, v5, v7
	v_fma_f32 v2, v1, v4, -v2
	v_add_f32_e32 v2, 0xa69f5554, v2
	v_fma_f32 v4, v1, v2, -v4
	;; [unrolled: 2-line block ×26, first 2 shown]
	v_exp_f32_e32 v2, v5
	v_cvt_i32_f32_e32 v5, v6
	v_add_f32_e32 v1, 0x3e81531c, v1
	v_sub_f32_e32 v1, v1, v4
	v_ldexp_f32 v2, v2, v5
	v_mul_f32_e32 v1, 0.5, v1
	v_cndmask_b32_e32 v4, 0, v2, vcc_lo
	v_cmp_ngt_f32_e32 vcc_lo, 0, v3
	v_mul_f32_e64 v2, |v3|, v1
	v_cndmask_b32_e64 v3, 0x7f800000, v4, s0
                                        ; implicit-def: $vgpr1
	s_and_saveexec_b32 s0, vcc_lo
	s_xor_b32 s0, exec_lo, s0
; %bb.308:
	v_mul_f32_e32 v1, v3, v2
                                        ; implicit-def: $vgpr3
                                        ; implicit-def: $vgpr2
; %bb.309:
	s_andn2_saveexec_b32 s0, s0
; %bb.310:
	v_mul_f32_e64 v1, v2, -v3
; %bb.311:
	s_or_b32 exec_lo, exec_lo, s0
                                        ; implicit-def: $vgpr3
.LBB19_312:
	s_andn2_saveexec_b32 s22, s22
	s_cbranch_execz .LBB19_318
; %bb.313:
	v_and_b32_e32 v1, 0x7fffffff, v3
	s_mov_b32 s0, 0x230aab6e
	v_div_scale_f32 v2, null, v1, v1, 0x42000000
	v_div_scale_f32 v1, vcc_lo, 0x42000000, v1, 0x42000000
	v_rcp_f32_e32 v4, v2
	v_fma_f32 v5, -v2, v4, 1.0
	v_fmac_f32_e32 v4, v5, v4
	v_mul_f32_e32 v5, v1, v4
	v_fma_f32 v6, -v2, v5, v1
	v_fmac_f32_e32 v5, v6, v4
	v_fma_f32 v1, -v2, v5, v1
	v_div_fmas_f32 v1, v1, v4, v5
	v_mul_f32_e64 v5, 0x3fb8aa3b, |v3|
	v_cmp_ngt_f32_e64 vcc_lo, 0xc2ce8ed0, |v3|
	v_div_fixup_f32 v1, v1, |v3|, 0x42000000
	v_rndne_f32_e32 v6, v5
	v_fma_f32 v7, 0x3fb8aa3b, |v3|, -v5
	v_add_f32_e32 v1, -2.0, v1
	v_sub_f32_e32 v5, v5, v6
	v_fma_f32 v7, 0x32a5705f, |v3|, v7
	v_cvt_i32_f32_e32 v6, v6
	v_fmaak_f32 v2, s0, v1, 0x22a2dc57
	v_cmp_nlt_f32_e64 s0, 0x42b17218, |v3|
	v_add_f32_e32 v5, v5, v7
	v_fmaak_f32 v4, v1, v2, 0xa30aab6e
	v_exp_f32_e32 v5, v5
	v_add_f32_e32 v4, 0xa456751e, v4
	v_fma_f32 v2, v1, v4, -v2
	v_ldexp_f32 v5, v5, v6
	v_add_f32_e32 v2, 0xa4140365, v2
	v_fma_f32 v4, v1, v2, -v4
	v_add_f32_e32 v4, 0x25aac8b0, v4
	v_fma_f32 v2, v1, v4, -v2
	v_add_f32_e32 v2, 0x25beb473, v2
	v_fma_f32 v4, v1, v2, -v4
	v_add_f32_e32 v4, 0xa7077e6c, v4
	v_fma_f32 v2, v1, v4, -v2
	v_add_f32_e32 v2, 0xa7896da9, v2
	v_fma_f32 v4, v1, v2, -v4
	v_add_f32_e32 v4, 0x283bb70c, v4
	v_fma_f32 v2, v1, v4, -v2
	v_add_f32_e32 v2, 0x294069e1, v2
	v_fma_f32 v4, v1, v2, -v4
	v_add_f32_e32 v4, 0xa8bd4a41, v4
	v_fma_f32 v2, v1, v4, -v2
	v_add_f32_e32 v2, 0xaae5e22c, v2
	v_fma_f32 v4, v1, v2, -v4
	v_add_f32_e32 v4, 0xab4a9f08, v4
	v_fma_f32 v2, v1, v4, -v2
	v_add_f32_e32 v2, 0x2c0f3ea0, v2
	v_fma_f32 v4, v1, v2, -v4
	v_add_f32_e32 v4, 0x2d7880fb, v4
	v_fma_f32 v2, v1, v4, -v2
	v_add_f32_e32 v2, 0x2e0f0d10, v2
	v_fma_f32 v4, v1, v2, -v4
	v_add_f32_e32 v4, 0xada6e7cf, v4
	v_fma_f32 v2, v1, v4, -v2
	v_add_f32_e32 v2, 0xb019a653, v2
	v_fma_f32 v4, v1, v2, -v4
	v_add_f32_e32 v4, 0xb183c85d, v4
	v_fma_f32 v2, v1, v4, -v2
	v_add_f32_e32 v2, 0xb2e20a9d, v2
	v_fma_f32 v4, v1, v2, -v4
	v_add_f32_e32 v4, 0xb486dfe9, v4
	v_fma_f32 v2, v1, v4, -v2
	v_add_f32_e32 v2, 0xb68246fa, v2
	v_fma_f32 v4, v1, v2, -v4
	v_add_f32_e32 v4, 0xb8e7ebfc, v4
	v_fma_f32 v2, v1, v4, -v2
	v_add_f32_e32 v2, 0xbc1fed03, v2
	v_fma_f32 v1, v1, v2, -v4
	v_cndmask_b32_e32 v2, 0, v5, vcc_lo
	v_add_f32_e32 v1, 0x3f4750c6, v1
	v_cndmask_b32_e64 v2, 0x7f800000, v2, s0
	s_mov_b32 s0, exec_lo
	v_sub_f32_e32 v4, v1, v4
                                        ; implicit-def: $vgpr1
	v_cmpx_ngt_f32_e32 0, v3
	s_xor_b32 s23, exec_lo, s0
	s_cbranch_execz .LBB19_315
; %bb.314:
	v_mul_f32_e64 v1, 0x4f800000, |v3|
	v_cmp_gt_f32_e64 vcc_lo, 0xf800000, |v3|
	v_mul_f32_e32 v4, 0.5, v4
	v_cndmask_b32_e64 v1, |v3|, v1, vcc_lo
	v_mul_f32_e32 v2, v2, v4
	v_sqrt_f32_e32 v3, v1
	v_add_nc_u32_e32 v5, -1, v3
	v_add_nc_u32_e32 v6, 1, v3
	v_fma_f32 v7, -v5, v3, v1
	v_fma_f32 v9, -v6, v3, v1
	v_cmp_ge_f32_e64 s0, 0, v7
	v_cndmask_b32_e64 v3, v3, v5, s0
	v_cmp_lt_f32_e64 s0, 0, v9
	v_cndmask_b32_e64 v3, v3, v6, s0
	v_mul_f32_e32 v5, 0x37800000, v3
	v_cndmask_b32_e32 v3, v3, v5, vcc_lo
	v_cmp_class_f32_e64 vcc_lo, v1, 0x260
	v_cndmask_b32_e32 v1, v3, v1, vcc_lo
	v_div_scale_f32 v3, null, v1, v1, v2
	v_rcp_f32_e32 v4, v3
	v_fma_f32 v5, -v3, v4, 1.0
	v_fmac_f32_e32 v4, v5, v4
	v_div_scale_f32 v5, vcc_lo, v2, v1, v2
	v_mul_f32_e32 v6, v5, v4
	v_fma_f32 v7, -v3, v6, v5
	v_fmac_f32_e32 v6, v7, v4
	v_fma_f32 v3, -v3, v6, v5
	v_div_fmas_f32 v3, v3, v4, v6
                                        ; implicit-def: $vgpr4
	v_div_fixup_f32 v1, v3, v1, v2
                                        ; implicit-def: $vgpr3
                                        ; implicit-def: $vgpr2
.LBB19_315:
	s_andn2_saveexec_b32 s23, s23
	s_cbranch_execz .LBB19_317
; %bb.316:
	v_mul_f32_e64 v1, 0x4f800000, |v3|
	v_cmp_gt_f32_e64 vcc_lo, 0xf800000, |v3|
	v_mul_f32_e32 v4, -0.5, v4
	v_cndmask_b32_e64 v1, |v3|, v1, vcc_lo
	v_mul_f32_e32 v2, v2, v4
	v_sqrt_f32_e32 v3, v1
	v_add_nc_u32_e32 v5, -1, v3
	v_add_nc_u32_e32 v6, 1, v3
	v_fma_f32 v7, -v5, v3, v1
	v_fma_f32 v9, -v6, v3, v1
	v_cmp_ge_f32_e64 s0, 0, v7
	v_cndmask_b32_e64 v3, v3, v5, s0
	v_cmp_lt_f32_e64 s0, 0, v9
	v_cndmask_b32_e64 v3, v3, v6, s0
	v_mul_f32_e32 v5, 0x37800000, v3
	v_cndmask_b32_e32 v3, v3, v5, vcc_lo
	v_cmp_class_f32_e64 vcc_lo, v1, 0x260
	v_cndmask_b32_e32 v1, v3, v1, vcc_lo
	v_div_scale_f32 v3, null, v1, v1, v2
	v_rcp_f32_e32 v4, v3
	v_fma_f32 v5, -v3, v4, 1.0
	v_fmac_f32_e32 v4, v5, v4
	v_div_scale_f32 v5, vcc_lo, v2, v1, v2
	v_mul_f32_e32 v6, v5, v4
	v_fma_f32 v7, -v3, v6, v5
	v_fmac_f32_e32 v6, v7, v4
	v_fma_f32 v3, -v3, v6, v5
	v_div_fmas_f32 v3, v3, v4, v6
	v_div_fixup_f32 v1, v3, v1, v2
.LBB19_317:
	s_or_b32 exec_lo, exec_lo, s23
.LBB19_318:
	s_or_b32 exec_lo, exec_lo, s22
	v_add_co_u32 v3, s0, s8, v0
	v_add_co_ci_u32_e64 v4, null, s9, 0, s0
	s_and_b32 s22, s29, 0xff
	s_cmp_lt_i32 s22, 11
	s_cbranch_scc1 .LBB19_326
; %bb.319:
	s_and_b32 s23, 0xffff, s22
	s_cmp_gt_i32 s23, 25
	s_cbranch_scc0 .LBB19_328
; %bb.320:
	s_cmp_gt_i32 s23, 28
	s_cbranch_scc0 .LBB19_330
; %bb.321:
	;; [unrolled: 3-line block ×4, first 2 shown]
	s_mov_b32 s40, 0
	s_mov_b32 s0, -1
	s_cmp_eq_u32 s23, 46
	s_mov_b32 s39, 0
	s_cbranch_scc0 .LBB19_343
; %bb.324:
	v_bfe_u32 v0, v1, 16, 1
	v_cmp_o_f32_e32 vcc_lo, v1, v1
	v_mov_b32_e32 v2, 0x7fc0
	s_mov_b32 s39, -1
	s_mov_b32 s0, 0
	v_add3_u32 v0, v1, v0, 0x7fff
	v_cndmask_b32_sdwa v0, v2, v0, vcc_lo dst_sel:DWORD dst_unused:UNUSED_PAD src0_sel:DWORD src1_sel:WORD_1
	global_store_dword v[3:4], v0, off
	s_branch .LBB19_343
.LBB19_325:
	s_mov_b32 s23, -1
	s_mov_b32 s22, 0
	s_mov_b32 s1, s37
                                        ; implicit-def: $vgpr3
	s_branch .LBB19_480
.LBB19_326:
	s_mov_b32 s23, -1
	s_mov_b32 s39, 0
	s_mov_b32 s0, s36
	s_branch .LBB19_412
.LBB19_327:
	s_mov_b32 s23, -1
	s_mov_b32 s22, 0
	s_mov_b32 s1, s37
                                        ; implicit-def: $vgpr3
	s_branch .LBB19_461
.LBB19_328:
	s_mov_b32 s40, -1
	s_mov_b32 s39, 0
	s_mov_b32 s0, s36
	s_branch .LBB19_370
.LBB19_329:
	s_mov_b32 s23, -1
	s_mov_b32 s22, 0
	s_mov_b32 s1, s37
                                        ; implicit-def: $vgpr3
	s_branch .LBB19_456
.LBB19_330:
	s_mov_b32 s40, -1
	s_mov_b32 s39, 0
	s_mov_b32 s0, s36
	s_branch .LBB19_353
.LBB19_331:
	s_andn2_saveexec_b32 s40, s40
	s_cbranch_execz .LBB19_80
.LBB19_332:
	v_add_f32_e64 v0, 0x46000000, |v1|
	s_andn2_b32 s37, s37, exec_lo
	v_and_b32_e32 v0, 0xff, v0
	v_cmp_ne_u32_e32 vcc_lo, 0, v0
	s_and_b32 s41, vcc_lo, exec_lo
	s_or_b32 s37, s37, s41
	s_or_b32 exec_lo, exec_lo, s40
	v_mov_b32_e32 v2, 0
	s_and_saveexec_b32 s40, s37
	s_cbranch_execnz .LBB19_81
	s_branch .LBB19_82
.LBB19_333:
	s_mov_b32 s23, -1
	s_mov_b32 s22, 0
	s_mov_b32 s1, s37
	s_branch .LBB19_338
.LBB19_334:
	s_mov_b32 s40, -1
	s_mov_b32 s39, 0
	s_mov_b32 s0, s36
	s_branch .LBB19_349
.LBB19_335:
	s_andn2_saveexec_b32 s40, s40
	s_cbranch_execz .LBB19_93
.LBB19_336:
	v_add_f32_e64 v0, 0x42800000, |v1|
	s_andn2_b32 s37, s37, exec_lo
	v_and_b32_e32 v0, 0xff, v0
	v_cmp_ne_u32_e32 vcc_lo, 0, v0
	s_and_b32 s41, vcc_lo, exec_lo
	s_or_b32 s37, s37, s41
	s_or_b32 exec_lo, exec_lo, s40
	v_mov_b32_e32 v2, 0
	s_and_saveexec_b32 s40, s37
	s_cbranch_execnz .LBB19_94
	s_branch .LBB19_95
.LBB19_337:
	s_mov_b32 s1, -1
	s_mov_b32 s22, 0
.LBB19_338:
                                        ; implicit-def: $vgpr3
.LBB19_339:
	s_and_b32 vcc_lo, exec_lo, s23
	s_cbranch_vccz .LBB19_455
; %bb.340:
	s_cmp_eq_u32 s0, 44
	s_cbranch_scc0 .LBB19_454
; %bb.341:
	global_load_ubyte v3, v[1:2], off
	s_mov_b32 s1, 0
	s_mov_b32 s22, -1
	s_waitcnt vmcnt(0)
	v_lshlrev_b32_e32 v4, 23, v3
	v_cmp_ne_u32_e32 vcc_lo, 0xff, v3
	v_cndmask_b32_e32 v4, 0x7f800001, v4, vcc_lo
	v_cmp_ne_u32_e32 vcc_lo, 0, v3
	v_cndmask_b32_e32 v3, 0x400000, v4, vcc_lo
	s_branch .LBB19_455
.LBB19_342:
	s_mov_b32 s40, -1
	s_mov_b32 s39, 0
	s_mov_b32 s0, s36
.LBB19_343:
	s_and_b32 vcc_lo, exec_lo, s40
	s_cbranch_vccz .LBB19_348
; %bb.344:
	s_cmp_eq_u32 s23, 44
	s_mov_b32 s0, -1
	s_cbranch_scc0 .LBB19_348
; %bb.345:
	v_bfe_u32 v2, v1, 23, 8
	v_mov_b32_e32 v0, 0xff
	s_mov_b32 s39, exec_lo
	v_cmpx_ne_u32_e32 0xff, v2
	s_cbranch_execz .LBB19_347
; %bb.346:
	v_and_b32_e32 v0, 0x400000, v1
	v_and_or_b32 v2, 0x3fffff, v1, v2
	v_cmp_ne_u32_e32 vcc_lo, 0, v0
	v_cmp_ne_u32_e64 s0, 0, v2
	v_lshrrev_b32_e32 v0, 23, v1
	s_and_b32 s0, vcc_lo, s0
	v_cndmask_b32_e64 v2, 0, 1, s0
	v_add_nc_u32_e32 v0, v0, v2
.LBB19_347:
	s_or_b32 exec_lo, exec_lo, s39
	s_mov_b32 s39, -1
	s_mov_b32 s0, 0
	global_store_byte v[3:4], v0, off
.LBB19_348:
	s_mov_b32 s40, 0
.LBB19_349:
	s_and_b32 vcc_lo, exec_lo, s40
	s_cbranch_vccz .LBB19_352
; %bb.350:
	s_cmp_eq_u32 s23, 29
	s_mov_b32 s0, -1
	s_cbranch_scc0 .LBB19_352
; %bb.351:
	v_trunc_f32_e32 v0, v1
	s_mov_b32 s39, -1
	s_mov_b32 s0, 0
	s_mov_b32 s40, 0
	v_mul_f32_e32 v2, 0x2f800000, v0
	v_floor_f32_e32 v2, v2
	v_fmamk_f32 v0, v2, 0xcf800000, v0
	v_cvt_u32_f32_e32 v6, v2
	v_cvt_u32_f32_e32 v5, v0
	global_store_dwordx2 v[3:4], v[5:6], off
	s_branch .LBB19_353
.LBB19_352:
	s_mov_b32 s40, 0
.LBB19_353:
	s_and_b32 vcc_lo, exec_lo, s40
	s_cbranch_vccz .LBB19_369
; %bb.354:
	s_cmp_lt_i32 s23, 27
	s_mov_b32 s39, -1
	s_cbranch_scc1 .LBB19_360
; %bb.355:
	v_cvt_u32_f32_e32 v0, v1
	s_cmp_gt_i32 s23, 27
	s_cbranch_scc0 .LBB19_357
; %bb.356:
	s_mov_b32 s39, 0
	global_store_dword v[3:4], v0, off
.LBB19_357:
	s_andn2_b32 vcc_lo, exec_lo, s39
	s_cbranch_vccnz .LBB19_359
; %bb.358:
	global_store_short v[3:4], v0, off
.LBB19_359:
	s_mov_b32 s39, 0
.LBB19_360:
	s_andn2_b32 vcc_lo, exec_lo, s39
	s_cbranch_vccnz .LBB19_368
; %bb.361:
	v_and_b32_e32 v0, 0x7fffffff, v1
	v_mov_b32_e32 v2, 0x80
	s_mov_b32 s39, exec_lo
	v_cmpx_gt_u32_e32 0x43800000, v0
	s_cbranch_execz .LBB19_367
; %bb.362:
	v_cmp_lt_u32_e32 vcc_lo, 0x3bffffff, v0
	s_mov_b32 s40, 0
                                        ; implicit-def: $vgpr0
	s_and_saveexec_b32 s42, vcc_lo
	s_xor_b32 s42, exec_lo, s42
	s_cbranch_execz .LBB19_595
; %bb.363:
	v_bfe_u32 v0, v1, 20, 1
	s_mov_b32 s40, exec_lo
	v_add3_u32 v0, v1, v0, 0x487ffff
	v_lshrrev_b32_e32 v0, 20, v0
	s_andn2_saveexec_b32 s42, s42
	s_cbranch_execnz .LBB19_596
.LBB19_364:
	s_or_b32 exec_lo, exec_lo, s42
	v_mov_b32_e32 v2, 0
	s_and_saveexec_b32 s42, s40
.LBB19_365:
	v_lshrrev_b32_e32 v2, 24, v1
	v_and_or_b32 v2, 0x80, v2, v0
.LBB19_366:
	s_or_b32 exec_lo, exec_lo, s42
.LBB19_367:
	s_or_b32 exec_lo, exec_lo, s39
	global_store_byte v[3:4], v2, off
.LBB19_368:
	s_mov_b32 s39, -1
.LBB19_369:
	s_mov_b32 s40, 0
.LBB19_370:
	s_and_b32 vcc_lo, exec_lo, s40
	s_cbranch_vccz .LBB19_411
; %bb.371:
	s_cmp_gt_i32 s23, 22
	s_mov_b32 s40, -1
	s_cbranch_scc0 .LBB19_403
; %bb.372:
	s_cmp_lt_i32 s23, 24
	s_mov_b32 s39, -1
	s_cbranch_scc1 .LBB19_392
; %bb.373:
	s_cmp_gt_i32 s23, 24
	s_cbranch_scc0 .LBB19_381
; %bb.374:
	v_and_b32_e32 v0, 0x7fffffff, v1
	v_mov_b32_e32 v2, 0x80
	s_mov_b32 s39, exec_lo
	v_cmpx_gt_u32_e32 0x47800000, v0
	s_cbranch_execz .LBB19_380
; %bb.375:
	v_cmp_lt_u32_e32 vcc_lo, 0x37ffffff, v0
	s_mov_b32 s40, 0
                                        ; implicit-def: $vgpr0
	s_and_saveexec_b32 s42, vcc_lo
	s_xor_b32 s42, exec_lo, s42
	s_cbranch_execz .LBB19_598
; %bb.376:
	v_bfe_u32 v0, v1, 21, 1
	s_mov_b32 s40, exec_lo
	v_add3_u32 v0, v1, v0, 0x88fffff
	v_lshrrev_b32_e32 v0, 21, v0
	s_andn2_saveexec_b32 s42, s42
	s_cbranch_execnz .LBB19_599
.LBB19_377:
	s_or_b32 exec_lo, exec_lo, s42
	v_mov_b32_e32 v2, 0
	s_and_saveexec_b32 s42, s40
.LBB19_378:
	v_lshrrev_b32_e32 v2, 24, v1
	v_and_or_b32 v2, 0x80, v2, v0
.LBB19_379:
	s_or_b32 exec_lo, exec_lo, s42
.LBB19_380:
	s_or_b32 exec_lo, exec_lo, s39
	s_mov_b32 s39, 0
	global_store_byte v[3:4], v2, off
.LBB19_381:
	s_and_b32 vcc_lo, exec_lo, s39
	s_cbranch_vccz .LBB19_391
; %bb.382:
	v_and_b32_e32 v2, 0x7fffffff, v1
	s_mov_b32 s39, exec_lo
                                        ; implicit-def: $vgpr0
	v_cmpx_gt_u32_e32 0x43f00000, v2
	s_xor_b32 s39, exec_lo, s39
	s_cbranch_execz .LBB19_388
; %bb.383:
	s_mov_b32 s40, exec_lo
                                        ; implicit-def: $vgpr0
	v_cmpx_lt_u32_e32 0x3c7fffff, v2
	s_xor_b32 s40, exec_lo, s40
; %bb.384:
	v_bfe_u32 v0, v1, 20, 1
	v_add3_u32 v0, v1, v0, 0x407ffff
	v_and_b32_e32 v2, 0xff00000, v0
	v_lshrrev_b32_e32 v0, 20, v0
	v_cmp_ne_u32_e32 vcc_lo, 0x7f00000, v2
	v_cndmask_b32_e32 v0, 0x7e, v0, vcc_lo
; %bb.385:
	s_andn2_saveexec_b32 s40, s40
; %bb.386:
	v_add_f32_e64 v0, 0x46800000, |v1|
; %bb.387:
	s_or_b32 exec_lo, exec_lo, s40
                                        ; implicit-def: $vgpr2
.LBB19_388:
	s_andn2_saveexec_b32 s39, s39
; %bb.389:
	v_mov_b32_e32 v0, 0x7f
	v_cmp_lt_u32_e32 vcc_lo, 0x7f800000, v2
	v_cndmask_b32_e32 v0, 0x7e, v0, vcc_lo
; %bb.390:
	s_or_b32 exec_lo, exec_lo, s39
	v_lshrrev_b32_e32 v2, 24, v1
	v_and_or_b32 v0, 0x80, v2, v0
	global_store_byte v[3:4], v0, off
.LBB19_391:
	s_mov_b32 s39, 0
.LBB19_392:
	s_andn2_b32 vcc_lo, exec_lo, s39
	s_cbranch_vccnz .LBB19_402
; %bb.393:
	v_and_b32_e32 v2, 0x7fffffff, v1
	s_mov_b32 s39, exec_lo
                                        ; implicit-def: $vgpr0
	v_cmpx_gt_u32_e32 0x47800000, v2
	s_xor_b32 s39, exec_lo, s39
	s_cbranch_execz .LBB19_399
; %bb.394:
	s_mov_b32 s40, exec_lo
                                        ; implicit-def: $vgpr0
	v_cmpx_lt_u32_e32 0x387fffff, v2
	s_xor_b32 s40, exec_lo, s40
; %bb.395:
	v_bfe_u32 v0, v1, 21, 1
	v_add3_u32 v0, v1, v0, 0x80fffff
	v_lshrrev_b32_e32 v0, 21, v0
; %bb.396:
	s_andn2_saveexec_b32 s40, s40
; %bb.397:
	v_add_f32_e64 v0, 0x43000000, |v1|
; %bb.398:
	s_or_b32 exec_lo, exec_lo, s40
                                        ; implicit-def: $vgpr2
.LBB19_399:
	s_andn2_saveexec_b32 s39, s39
; %bb.400:
	v_mov_b32_e32 v0, 0x7f
	v_cmp_lt_u32_e32 vcc_lo, 0x7f800000, v2
	v_cndmask_b32_e32 v0, 0x7c, v0, vcc_lo
; %bb.401:
	s_or_b32 exec_lo, exec_lo, s39
	v_lshrrev_b32_e32 v2, 24, v1
	v_and_or_b32 v0, 0x80, v2, v0
	global_store_byte v[3:4], v0, off
.LBB19_402:
	s_mov_b32 s40, 0
	s_mov_b32 s39, -1
.LBB19_403:
	s_andn2_b32 vcc_lo, exec_lo, s40
	s_cbranch_vccnz .LBB19_411
; %bb.404:
	s_cmp_gt_i32 s23, 14
	s_mov_b32 s40, -1
	s_cbranch_scc0 .LBB19_408
; %bb.405:
	s_cmp_eq_u32 s23, 15
	s_mov_b32 s0, -1
	s_cbranch_scc0 .LBB19_407
; %bb.406:
	v_bfe_u32 v0, v1, 16, 1
	v_cmp_o_f32_e32 vcc_lo, v1, v1
	v_mov_b32_e32 v2, 0x7fc0
	s_mov_b32 s39, -1
	s_mov_b32 s0, 0
	v_add3_u32 v0, v1, v0, 0x7fff
	v_cndmask_b32_sdwa v0, v2, v0, vcc_lo dst_sel:DWORD dst_unused:UNUSED_PAD src0_sel:DWORD src1_sel:WORD_1
	global_store_short v[3:4], v0, off
.LBB19_407:
	s_mov_b32 s40, 0
.LBB19_408:
	s_and_b32 vcc_lo, exec_lo, s40
	s_cbranch_vccz .LBB19_411
; %bb.409:
	s_cmp_eq_u32 s23, 11
	s_mov_b32 s0, -1
	s_cbranch_scc0 .LBB19_411
; %bb.410:
	v_cmp_neq_f32_e32 vcc_lo, 0, v1
	s_mov_b32 s0, 0
	s_mov_b32 s39, -1
	v_cndmask_b32_e64 v0, 0, 1, vcc_lo
	global_store_byte v[3:4], v0, off
.LBB19_411:
	s_mov_b32 s23, 0
.LBB19_412:
	s_and_b32 vcc_lo, exec_lo, s23
	s_cbranch_vccz .LBB19_451
; %bb.413:
	s_and_b32 s22, 0xffff, s22
	s_mov_b32 s23, -1
	s_cmp_lt_i32 s22, 5
	s_cbranch_scc1 .LBB19_434
; %bb.414:
	s_cmp_lt_i32 s22, 8
	s_cbranch_scc1 .LBB19_424
; %bb.415:
	;; [unrolled: 3-line block ×3, first 2 shown]
	s_cmp_gt_i32 s22, 9
	s_cbranch_scc0 .LBB19_418
; %bb.417:
	v_cvt_f64_f32_e32 v[9:10], v1
	v_mov_b32_e32 v11, 0
	s_mov_b32 s23, 0
	v_mov_b32_e32 v12, v11
	global_store_dwordx4 v[3:4], v[9:12], off
.LBB19_418:
	s_andn2_b32 vcc_lo, exec_lo, s23
	s_cbranch_vccnz .LBB19_420
; %bb.419:
	v_mov_b32_e32 v2, 0
	global_store_dwordx2 v[3:4], v[1:2], off
.LBB19_420:
	s_mov_b32 s23, 0
.LBB19_421:
	s_andn2_b32 vcc_lo, exec_lo, s23
	s_cbranch_vccnz .LBB19_423
; %bb.422:
	v_cvt_f16_f32_e32 v0, v1
	v_and_b32_e32 v0, 0xffff, v0
	global_store_dword v[3:4], v0, off
.LBB19_423:
	s_mov_b32 s23, 0
.LBB19_424:
	s_andn2_b32 vcc_lo, exec_lo, s23
	s_cbranch_vccnz .LBB19_433
; %bb.425:
	s_cmp_lt_i32 s22, 6
	s_mov_b32 s23, -1
	s_cbranch_scc1 .LBB19_431
; %bb.426:
	s_cmp_gt_i32 s22, 6
	s_cbranch_scc0 .LBB19_428
; %bb.427:
	v_cvt_f64_f32_e32 v[5:6], v1
	s_mov_b32 s23, 0
	global_store_dwordx2 v[3:4], v[5:6], off
.LBB19_428:
	s_andn2_b32 vcc_lo, exec_lo, s23
	s_cbranch_vccnz .LBB19_430
; %bb.429:
	global_store_dword v[3:4], v1, off
.LBB19_430:
	s_mov_b32 s23, 0
.LBB19_431:
	s_andn2_b32 vcc_lo, exec_lo, s23
	s_cbranch_vccnz .LBB19_433
; %bb.432:
	v_cvt_f16_f32_e32 v0, v1
	global_store_short v[3:4], v0, off
.LBB19_433:
	s_mov_b32 s23, 0
.LBB19_434:
	s_andn2_b32 vcc_lo, exec_lo, s23
	s_cbranch_vccnz .LBB19_450
; %bb.435:
	s_cmp_lt_i32 s22, 2
	s_mov_b32 s23, -1
	s_cbranch_scc1 .LBB19_445
; %bb.436:
	s_cmp_lt_i32 s22, 3
	s_cbranch_scc1 .LBB19_442
; %bb.437:
	s_cmp_gt_i32 s22, 3
	s_cbranch_scc0 .LBB19_439
; %bb.438:
	v_trunc_f32_e32 v0, v1
	s_mov_b32 s23, 0
	v_mul_f32_e64 v2, 0x2f800000, |v0|
	v_floor_f32_e32 v2, v2
	v_fma_f32 v5, 0xcf800000, v2, |v0|
	v_ashrrev_i32_e32 v0, 31, v0
	v_cvt_u32_f32_e32 v2, v2
	v_cvt_u32_f32_e32 v5, v5
	v_xor_b32_e32 v2, v2, v0
	v_xor_b32_e32 v5, v5, v0
	v_sub_co_u32 v5, vcc_lo, v5, v0
	v_sub_co_ci_u32_e64 v6, null, v2, v0, vcc_lo
	global_store_dwordx2 v[3:4], v[5:6], off
.LBB19_439:
	s_andn2_b32 vcc_lo, exec_lo, s23
	s_cbranch_vccnz .LBB19_441
; %bb.440:
	v_cvt_i32_f32_e32 v0, v1
	global_store_dword v[3:4], v0, off
.LBB19_441:
	s_mov_b32 s23, 0
.LBB19_442:
	s_andn2_b32 vcc_lo, exec_lo, s23
	s_cbranch_vccnz .LBB19_444
; %bb.443:
	v_cvt_i32_f32_e32 v0, v1
	global_store_short v[3:4], v0, off
.LBB19_444:
	s_mov_b32 s23, 0
.LBB19_445:
	s_andn2_b32 vcc_lo, exec_lo, s23
	s_cbranch_vccnz .LBB19_450
; %bb.446:
	s_cmp_gt_i32 s22, 0
	s_mov_b32 s22, -1
	s_cbranch_scc0 .LBB19_448
; %bb.447:
	v_cvt_i32_f32_e32 v0, v1
	s_mov_b32 s22, 0
	global_store_byte v[3:4], v0, off
.LBB19_448:
	s_andn2_b32 vcc_lo, exec_lo, s22
	s_cbranch_vccnz .LBB19_450
; %bb.449:
	v_trunc_f32_e32 v0, v1
	v_mul_f32_e64 v1, 0x2f800000, |v0|
	v_floor_f32_e32 v1, v1
	v_fma_f32 v1, 0xcf800000, v1, |v0|
	v_ashrrev_i32_e32 v0, 31, v0
	v_cvt_u32_f32_e32 v1, v1
	v_xor_b32_e32 v1, v1, v0
	v_sub_nc_u32_e32 v0, v1, v0
	global_store_byte v[3:4], v0, off
.LBB19_450:
	s_mov_b32 s39, -1
.LBB19_451:
	s_andn2_b32 vcc_lo, exec_lo, s39
	s_cbranch_vccnz .LBB19_453
; %bb.452:
	v_add_nc_u32_e32 v8, 0x80, v8
	s_mov_b32 s22, -1
	s_branch .LBB19_566
.LBB19_453:
	s_mov_b32 s22, 0
	s_branch .LBB19_565
.LBB19_454:
	s_mov_b32 s1, -1
                                        ; implicit-def: $vgpr3
.LBB19_455:
	s_mov_b32 s23, 0
.LBB19_456:
	s_and_b32 vcc_lo, exec_lo, s23
	s_cbranch_vccz .LBB19_460
; %bb.457:
	s_cmp_eq_u32 s0, 29
	s_cbranch_scc0 .LBB19_459
; %bb.458:
	global_load_dwordx2 v[3:4], v[1:2], off
	s_mov_b32 s22, -1
	s_mov_b32 s1, 0
	s_mov_b32 s23, 0
	s_waitcnt vmcnt(0)
	v_ffbh_u32_e32 v5, v4
	v_min_u32_e32 v5, 32, v5
	v_lshlrev_b64 v[3:4], v5, v[3:4]
	v_min_u32_e32 v3, 1, v3
	v_or_b32_e32 v3, v4, v3
	v_sub_nc_u32_e32 v4, 32, v5
	v_cvt_f32_u32_e32 v3, v3
	v_ldexp_f32 v3, v3, v4
	s_branch .LBB19_461
.LBB19_459:
	s_mov_b32 s1, -1
                                        ; implicit-def: $vgpr3
.LBB19_460:
	s_mov_b32 s23, 0
.LBB19_461:
	s_and_b32 vcc_lo, exec_lo, s23
	s_cbranch_vccz .LBB19_479
; %bb.462:
	s_cmp_lt_i32 s0, 27
	s_cbranch_scc1 .LBB19_465
; %bb.463:
	s_cmp_gt_i32 s0, 27
	s_cbranch_scc0 .LBB19_466
; %bb.464:
	global_load_dword v3, v[1:2], off
	s_mov_b32 s22, 0
	s_waitcnt vmcnt(0)
	v_cvt_f32_u32_e32 v3, v3
	s_branch .LBB19_467
.LBB19_465:
	s_mov_b32 s22, -1
                                        ; implicit-def: $vgpr3
	s_branch .LBB19_470
.LBB19_466:
	s_mov_b32 s22, -1
                                        ; implicit-def: $vgpr3
.LBB19_467:
	s_andn2_b32 vcc_lo, exec_lo, s22
	s_cbranch_vccnz .LBB19_469
; %bb.468:
	global_load_ushort v3, v[1:2], off
	s_waitcnt vmcnt(0)
	v_cvt_f32_u32_e32 v3, v3
.LBB19_469:
	s_mov_b32 s22, 0
.LBB19_470:
	s_andn2_b32 vcc_lo, exec_lo, s22
	s_cbranch_vccnz .LBB19_478
; %bb.471:
	global_load_ubyte v4, v[1:2], off
	s_mov_b32 s22, 0
	s_mov_b32 s23, exec_lo
	s_waitcnt vmcnt(0)
	v_cmpx_lt_i16_e32 0x7f, v4
	s_xor_b32 s23, exec_lo, s23
	s_cbranch_execz .LBB19_492
; %bb.472:
	s_mov_b32 s22, -1
	s_mov_b32 s39, exec_lo
	v_cmpx_eq_u16_e32 0x80, v4
; %bb.473:
	s_xor_b32 s22, exec_lo, -1
; %bb.474:
	s_or_b32 exec_lo, exec_lo, s39
	s_and_b32 s22, s22, exec_lo
	s_or_saveexec_b32 s23, s23
	v_mov_b32_e32 v3, 0x7f800001
	s_xor_b32 exec_lo, exec_lo, s23
	s_cbranch_execnz .LBB19_493
.LBB19_475:
	s_or_b32 exec_lo, exec_lo, s23
	s_and_saveexec_b32 s23, s22
	s_cbranch_execz .LBB19_477
.LBB19_476:
	v_and_b32_e32 v3, 0xffff, v4
	v_lshlrev_b32_e32 v4, 24, v4
	v_and_b32_e32 v5, 7, v3
	v_bfe_u32 v9, v3, 3, 4
	v_and_b32_e32 v4, 0x80000000, v4
	v_ffbh_u32_e32 v6, v5
	v_cmp_eq_u32_e32 vcc_lo, 0, v9
	v_min_u32_e32 v6, 32, v6
	v_subrev_nc_u32_e32 v7, 28, v6
	v_sub_nc_u32_e32 v6, 29, v6
	v_lshlrev_b32_e32 v3, v7, v3
	v_cndmask_b32_e32 v6, v9, v6, vcc_lo
	v_and_b32_e32 v3, 7, v3
	v_cndmask_b32_e32 v3, v5, v3, vcc_lo
	v_lshl_add_u32 v5, v6, 23, 0x3b800000
	v_lshlrev_b32_e32 v3, 20, v3
	v_or3_b32 v3, v4, v5, v3
.LBB19_477:
	s_or_b32 exec_lo, exec_lo, s23
.LBB19_478:
	s_mov_b32 s22, -1
.LBB19_479:
	s_mov_b32 s23, 0
.LBB19_480:
	s_and_b32 vcc_lo, exec_lo, s23
	s_cbranch_vccz .LBB19_515
; %bb.481:
	s_cmp_gt_i32 s0, 22
	s_cbranch_scc0 .LBB19_491
; %bb.482:
	s_cmp_lt_i32 s0, 24
	s_cbranch_scc1 .LBB19_494
; %bb.483:
	s_cmp_gt_i32 s0, 24
	s_cbranch_scc0 .LBB19_495
; %bb.484:
	global_load_ubyte v4, v[1:2], off
	s_mov_b32 s22, 0
	s_mov_b32 s23, exec_lo
	s_waitcnt vmcnt(0)
	v_cmpx_lt_i16_e32 0x7f, v4
	s_xor_b32 s23, exec_lo, s23
	s_cbranch_execz .LBB19_507
; %bb.485:
	s_mov_b32 s22, -1
	s_mov_b32 s39, exec_lo
	v_cmpx_eq_u16_e32 0x80, v4
; %bb.486:
	s_xor_b32 s22, exec_lo, -1
; %bb.487:
	s_or_b32 exec_lo, exec_lo, s39
	s_and_b32 s22, s22, exec_lo
	s_or_saveexec_b32 s23, s23
	v_mov_b32_e32 v3, 0x7f800001
	s_xor_b32 exec_lo, exec_lo, s23
	s_cbranch_execnz .LBB19_508
.LBB19_488:
	s_or_b32 exec_lo, exec_lo, s23
	s_and_saveexec_b32 s23, s22
	s_cbranch_execz .LBB19_490
.LBB19_489:
	v_and_b32_e32 v3, 0xffff, v4
	v_lshlrev_b32_e32 v4, 24, v4
	v_and_b32_e32 v5, 3, v3
	v_bfe_u32 v9, v3, 2, 5
	v_and_b32_e32 v4, 0x80000000, v4
	v_ffbh_u32_e32 v6, v5
	v_cmp_eq_u32_e32 vcc_lo, 0, v9
	v_min_u32_e32 v6, 32, v6
	v_subrev_nc_u32_e32 v7, 29, v6
	v_sub_nc_u32_e32 v6, 30, v6
	v_lshlrev_b32_e32 v3, v7, v3
	v_cndmask_b32_e32 v6, v9, v6, vcc_lo
	v_and_b32_e32 v3, 3, v3
	v_cndmask_b32_e32 v3, v5, v3, vcc_lo
	v_lshl_add_u32 v5, v6, 23, 0x37800000
	v_lshlrev_b32_e32 v3, 21, v3
	v_or3_b32 v3, v4, v5, v3
.LBB19_490:
	s_or_b32 exec_lo, exec_lo, s23
	s_mov_b32 s22, 0
	s_branch .LBB19_496
.LBB19_491:
	s_mov_b32 s23, -1
                                        ; implicit-def: $vgpr3
	s_branch .LBB19_502
.LBB19_492:
	s_or_saveexec_b32 s23, s23
	v_mov_b32_e32 v3, 0x7f800001
	s_xor_b32 exec_lo, exec_lo, s23
	s_cbranch_execz .LBB19_475
.LBB19_493:
	v_cmp_ne_u16_e32 vcc_lo, 0, v4
	v_mov_b32_e32 v3, 0
	s_andn2_b32 s22, s22, exec_lo
	s_and_b32 s39, vcc_lo, exec_lo
	s_or_b32 s22, s22, s39
	s_or_b32 exec_lo, exec_lo, s23
	s_and_saveexec_b32 s23, s22
	s_cbranch_execnz .LBB19_476
	s_branch .LBB19_477
.LBB19_494:
	s_mov_b32 s22, -1
                                        ; implicit-def: $vgpr3
	s_branch .LBB19_499
.LBB19_495:
	s_mov_b32 s22, -1
                                        ; implicit-def: $vgpr3
.LBB19_496:
	s_and_b32 vcc_lo, exec_lo, s22
	s_cbranch_vccz .LBB19_498
; %bb.497:
	global_load_ubyte v3, v[1:2], off
	s_waitcnt vmcnt(0)
	v_lshlrev_b32_e32 v3, 24, v3
	v_and_b32_e32 v4, 0x7f000000, v3
	v_ffbh_u32_e32 v5, v4
	v_add_nc_u32_e32 v7, 0x1000000, v4
	v_cmp_ne_u32_e32 vcc_lo, 0, v4
	v_min_u32_e32 v5, 32, v5
	v_sub_nc_u32_e64 v5, v5, 4 clamp
	v_lshlrev_b32_e32 v6, v5, v4
	v_lshlrev_b32_e32 v5, 23, v5
	v_lshrrev_b32_e32 v6, 4, v6
	v_sub_nc_u32_e32 v5, v6, v5
	v_ashrrev_i32_e32 v6, 8, v7
	v_add_nc_u32_e32 v5, 0x3c000000, v5
	v_and_or_b32 v5, 0x7f800000, v6, v5
	v_cndmask_b32_e32 v4, 0, v5, vcc_lo
	v_and_or_b32 v3, 0x80000000, v3, v4
.LBB19_498:
	s_mov_b32 s22, 0
.LBB19_499:
	s_andn2_b32 vcc_lo, exec_lo, s22
	s_cbranch_vccnz .LBB19_501
; %bb.500:
	global_load_ubyte v3, v[1:2], off
	s_waitcnt vmcnt(0)
	v_lshlrev_b32_e32 v4, 25, v3
	v_lshlrev_b16 v3, 8, v3
	v_lshrrev_b32_e32 v5, 4, v4
	v_and_or_b32 v6, 0x7f00, v3, 0.5
	v_cmp_gt_u32_e32 vcc_lo, 0x8000000, v4
	v_bfe_i32 v3, v3, 0, 16
	v_or_b32_e32 v5, 0x70000000, v5
	v_add_f32_e32 v6, -0.5, v6
	v_mul_f32_e32 v5, 0x7800000, v5
	v_cndmask_b32_e32 v4, v5, v6, vcc_lo
	v_and_or_b32 v3, 0x80000000, v3, v4
.LBB19_501:
	s_mov_b32 s23, 0
	s_mov_b32 s22, -1
.LBB19_502:
	s_andn2_b32 vcc_lo, exec_lo, s23
	s_cbranch_vccnz .LBB19_515
; %bb.503:
	s_cmp_gt_i32 s0, 14
	s_cbranch_scc0 .LBB19_506
; %bb.504:
	s_cmp_eq_u32 s0, 15
	s_cbranch_scc0 .LBB19_509
; %bb.505:
	global_load_ushort v3, v[1:2], off
	s_mov_b32 s22, -1
	s_mov_b32 s1, 0
	s_waitcnt vmcnt(0)
	v_lshlrev_b32_e32 v3, 16, v3
	s_branch .LBB19_510
.LBB19_506:
	s_mov_b32 s23, -1
                                        ; implicit-def: $vgpr3
	s_branch .LBB19_511
.LBB19_507:
	s_or_saveexec_b32 s23, s23
	v_mov_b32_e32 v3, 0x7f800001
	s_xor_b32 exec_lo, exec_lo, s23
	s_cbranch_execz .LBB19_488
.LBB19_508:
	v_cmp_ne_u16_e32 vcc_lo, 0, v4
	v_mov_b32_e32 v3, 0
	s_andn2_b32 s22, s22, exec_lo
	s_and_b32 s39, vcc_lo, exec_lo
	s_or_b32 s22, s22, s39
	s_or_b32 exec_lo, exec_lo, s23
	s_and_saveexec_b32 s23, s22
	s_cbranch_execnz .LBB19_489
	s_branch .LBB19_490
.LBB19_509:
	s_mov_b32 s1, -1
                                        ; implicit-def: $vgpr3
.LBB19_510:
	s_mov_b32 s23, 0
.LBB19_511:
	s_and_b32 vcc_lo, exec_lo, s23
	s_cbranch_vccz .LBB19_515
; %bb.512:
	s_cmp_eq_u32 s0, 11
	s_cbranch_scc0 .LBB19_514
; %bb.513:
	global_load_ubyte v3, v[1:2], off
	s_mov_b32 s1, 0
	s_mov_b32 s22, -1
	s_waitcnt vmcnt(0)
	v_cmp_ne_u16_e32 vcc_lo, 0, v3
	v_cndmask_b32_e64 v3, 0, 1.0, vcc_lo
	s_branch .LBB19_515
.LBB19_514:
	s_mov_b32 s1, -1
                                        ; implicit-def: $vgpr3
.LBB19_515:
	s_branch .LBB19_305
.LBB19_516:
	s_cmp_lt_i32 s0, 5
	s_cbranch_scc1 .LBB19_521
; %bb.517:
	s_cmp_lt_i32 s0, 8
	s_cbranch_scc1 .LBB19_522
; %bb.518:
	;; [unrolled: 3-line block ×3, first 2 shown]
	s_cmp_gt_i32 s0, 9
	s_cbranch_scc0 .LBB19_524
; %bb.520:
	global_load_dwordx2 v[3:4], v[1:2], off
	s_mov_b32 s22, 0
	s_waitcnt vmcnt(0)
	v_cvt_f32_f64_e32 v3, v[3:4]
	s_branch .LBB19_525
.LBB19_521:
	s_mov_b32 s22, -1
                                        ; implicit-def: $vgpr3
	s_branch .LBB19_543
.LBB19_522:
	s_mov_b32 s22, -1
                                        ; implicit-def: $vgpr3
	s_branch .LBB19_531
.LBB19_523:
	s_mov_b32 s22, -1
                                        ; implicit-def: $vgpr3
	s_branch .LBB19_528
.LBB19_524:
	s_mov_b32 s22, -1
                                        ; implicit-def: $vgpr3
.LBB19_525:
	s_andn2_b32 vcc_lo, exec_lo, s22
	s_cbranch_vccnz .LBB19_527
; %bb.526:
	global_load_dword v3, v[1:2], off
.LBB19_527:
	s_mov_b32 s22, 0
.LBB19_528:
	s_andn2_b32 vcc_lo, exec_lo, s22
	s_cbranch_vccnz .LBB19_530
; %bb.529:
	global_load_dword v3, v[1:2], off
	s_waitcnt vmcnt(0)
	v_cvt_f32_f16_e32 v3, v3
.LBB19_530:
	s_mov_b32 s22, 0
.LBB19_531:
	s_andn2_b32 vcc_lo, exec_lo, s22
	s_cbranch_vccnz .LBB19_542
; %bb.532:
	s_cmp_lt_i32 s0, 6
	s_cbranch_scc1 .LBB19_535
; %bb.533:
	s_cmp_gt_i32 s0, 6
	s_cbranch_scc0 .LBB19_536
; %bb.534:
	global_load_dwordx2 v[3:4], v[1:2], off
	s_mov_b32 s22, 0
	s_waitcnt vmcnt(0)
	v_cvt_f32_f64_e32 v3, v[3:4]
	s_branch .LBB19_537
.LBB19_535:
	s_mov_b32 s22, -1
                                        ; implicit-def: $vgpr3
	s_branch .LBB19_540
.LBB19_536:
	s_mov_b32 s22, -1
                                        ; implicit-def: $vgpr3
.LBB19_537:
	s_andn2_b32 vcc_lo, exec_lo, s22
	s_cbranch_vccnz .LBB19_539
; %bb.538:
	global_load_dword v3, v[1:2], off
.LBB19_539:
	s_mov_b32 s22, 0
.LBB19_540:
	s_andn2_b32 vcc_lo, exec_lo, s22
	s_cbranch_vccnz .LBB19_542
; %bb.541:
	global_load_ushort v3, v[1:2], off
	s_waitcnt vmcnt(0)
	v_cvt_f32_f16_e32 v3, v3
.LBB19_542:
	s_mov_b32 s22, 0
.LBB19_543:
	s_andn2_b32 vcc_lo, exec_lo, s22
	s_cbranch_vccnz .LBB19_563
; %bb.544:
	s_cmp_lt_i32 s0, 2
	s_cbranch_scc1 .LBB19_548
; %bb.545:
	s_cmp_lt_i32 s0, 3
	s_cbranch_scc1 .LBB19_549
; %bb.546:
	s_cmp_gt_i32 s0, 3
	s_cbranch_scc0 .LBB19_550
; %bb.547:
	global_load_dwordx2 v[3:4], v[1:2], off
	s_mov_b32 s22, 0
	s_waitcnt vmcnt(0)
	v_xor_b32_e32 v5, v3, v4
	v_ffbh_i32_e32 v6, v4
	v_ashrrev_i32_e32 v5, 31, v5
	v_add_nc_u32_e32 v6, -1, v6
	v_add_nc_u32_e32 v5, 32, v5
	v_min_u32_e32 v5, v6, v5
	v_lshlrev_b64 v[3:4], v5, v[3:4]
	v_min_u32_e32 v3, 1, v3
	v_or_b32_e32 v3, v4, v3
	v_sub_nc_u32_e32 v4, 32, v5
	v_cvt_f32_i32_e32 v3, v3
	v_ldexp_f32 v3, v3, v4
	s_branch .LBB19_551
.LBB19_548:
	s_mov_b32 s22, -1
                                        ; implicit-def: $vgpr3
	s_branch .LBB19_557
.LBB19_549:
	s_mov_b32 s22, -1
                                        ; implicit-def: $vgpr3
	s_branch .LBB19_554
.LBB19_550:
	s_mov_b32 s22, -1
                                        ; implicit-def: $vgpr3
.LBB19_551:
	s_andn2_b32 vcc_lo, exec_lo, s22
	s_cbranch_vccnz .LBB19_553
; %bb.552:
	global_load_dword v3, v[1:2], off
	s_waitcnt vmcnt(0)
	v_cvt_f32_i32_e32 v3, v3
.LBB19_553:
	s_mov_b32 s22, 0
.LBB19_554:
	s_andn2_b32 vcc_lo, exec_lo, s22
	s_cbranch_vccnz .LBB19_556
; %bb.555:
	global_load_sshort v3, v[1:2], off
	s_waitcnt vmcnt(0)
	v_cvt_f32_i32_e32 v3, v3
.LBB19_556:
	s_mov_b32 s22, 0
.LBB19_557:
	s_andn2_b32 vcc_lo, exec_lo, s22
	s_cbranch_vccnz .LBB19_563
; %bb.558:
	s_cmp_gt_i32 s0, 0
	s_mov_b32 s0, 0
	s_cbranch_scc0 .LBB19_560
; %bb.559:
	global_load_sbyte v3, v[1:2], off
	s_waitcnt vmcnt(0)
	v_cvt_f32_i32_e32 v3, v3
	s_branch .LBB19_561
.LBB19_560:
	s_mov_b32 s0, -1
                                        ; implicit-def: $vgpr3
.LBB19_561:
	s_andn2_b32 vcc_lo, exec_lo, s0
	s_cbranch_vccnz .LBB19_563
; %bb.562:
	global_load_ubyte v1, v[1:2], off
	s_waitcnt vmcnt(0)
	v_cvt_f32_ubyte0_e32 v3, v1
.LBB19_563:
	s_branch .LBB19_306
.LBB19_564:
	s_mov_b32 s22, 0
	s_mov_b32 s0, s36
.LBB19_565:
                                        ; implicit-def: $vgpr8
.LBB19_566:
	s_andn2_b32 s23, s36, exec_lo
	s_and_b32 s0, s0, exec_lo
	s_andn2_b32 s39, s37, exec_lo
	s_and_b32 s1, s1, exec_lo
	s_or_b32 s40, s23, s0
	s_or_b32 s39, s39, s1
	s_orn2_b32 s0, s22, exec_lo
.LBB19_567:
	s_or_b32 exec_lo, exec_lo, s41
	s_mov_b32 s1, 0
	s_mov_b32 s23, 0
	;; [unrolled: 1-line block ×3, first 2 shown]
                                        ; implicit-def: $vgpr1_vgpr2
                                        ; implicit-def: $vgpr0
                                        ; implicit-def: $vgpr5
	s_and_saveexec_b32 s41, s0
	s_cbranch_execz .LBB19_956
; %bb.568:
	s_mov_b32 s44, -1
	s_mov_b32 s22, s39
	s_mov_b32 s23, s40
	s_mov_b32 s42, exec_lo
	v_cmpx_gt_i32_e64 s33, v8
	s_cbranch_execz .LBB19_855
; %bb.569:
	s_andn2_b32 vcc_lo, exec_lo, s27
	s_cbranch_vccnz .LBB19_574
; %bb.570:
	s_andn2_b32 vcc_lo, exec_lo, s34
	s_cbranch_vccnz .LBB19_575
; %bb.571:
	s_add_i32 s44, s35, 1
	s_cmp_eq_u32 s25, 2
	s_cbranch_scc1 .LBB19_576
; %bb.572:
	v_mov_b32_e32 v2, 0
	v_mov_b32_e32 v0, 0
	;; [unrolled: 1-line block ×3, first 2 shown]
	s_and_b32 s43, s44, 28
	s_mov_b32 s45, 0
	s_mov_b64 s[0:1], s[2:3]
	s_mov_b64 s[22:23], s[20:21]
.LBB19_573:                             ; =>This Inner Loop Header: Depth=1
	s_clause 0x1
	s_load_dwordx8 s[48:55], s[0:1], 0x4
	s_load_dwordx4 s[64:67], s[0:1], 0x24
	s_load_dwordx8 s[56:63], s[22:23], 0x0
	s_add_u32 s0, s0, 48
	s_addc_u32 s1, s1, 0
	s_add_i32 s45, s45, 4
	s_add_u32 s22, s22, 32
	s_addc_u32 s23, s23, 0
	s_cmp_eq_u32 s43, s45
	s_waitcnt vmcnt(0) lgkmcnt(0)
	v_mul_hi_u32 v3, s49, v1
	v_add_nc_u32_e32 v3, v1, v3
	v_lshrrev_b32_e32 v3, s50, v3
	v_mul_hi_u32 v4, s52, v3
	v_mul_lo_u32 v6, v3, s48
	v_add_nc_u32_e32 v4, v3, v4
	v_sub_nc_u32_e32 v1, v1, v6
	v_lshrrev_b32_e32 v4, s53, v4
	v_mul_lo_u32 v6, v1, s56
	v_mul_lo_u32 v9, v1, s57
	v_mul_hi_u32 v5, s55, v4
	v_add_nc_u32_e32 v5, v4, v5
	v_lshrrev_b32_e32 v5, s64, v5
	v_mul_hi_u32 v7, s66, v5
	v_mul_lo_u32 v10, v5, s54
	v_add_nc_u32_e32 v1, v5, v7
	v_mul_lo_u32 v7, v4, s51
	v_sub_nc_u32_e32 v4, v4, v10
	v_lshrrev_b32_e32 v1, s67, v1
	v_mul_lo_u32 v10, v4, s60
	v_mul_lo_u32 v4, v4, s61
	v_sub_nc_u32_e32 v3, v3, v7
	v_mul_lo_u32 v11, v1, s65
	v_mul_lo_u32 v7, v3, s58
	;; [unrolled: 1-line block ×3, first 2 shown]
	v_sub_nc_u32_e32 v5, v5, v11
	v_add3_u32 v0, v6, v0, v7
	v_mul_lo_u32 v11, v5, s62
	v_mul_lo_u32 v5, v5, s63
	v_add3_u32 v2, v9, v2, v3
	v_add3_u32 v0, v10, v0, v11
	v_add3_u32 v2, v4, v2, v5
	s_cbranch_scc0 .LBB19_573
	s_branch .LBB19_577
.LBB19_574:
	s_mov_b32 s0, -1
                                        ; implicit-def: $vgpr0
                                        ; implicit-def: $vgpr2
	s_branch .LBB19_581
.LBB19_575:
	v_mov_b32_e32 v0, 0
	v_mov_b32_e32 v2, 0
	s_branch .LBB19_580
.LBB19_576:
	v_mov_b32_e32 v0, 0
	v_mov_b32_e32 v2, 0
	;; [unrolled: 1-line block ×3, first 2 shown]
	s_mov_b32 s43, 0
.LBB19_577:
	s_and_b32 s44, s44, 3
	s_cmp_eq_u32 s44, 0
	s_cbranch_scc1 .LBB19_580
; %bb.578:
	s_lshl_b32 s0, s43, 3
	s_mul_i32 s22, s43, 12
	s_add_u32 s0, s2, s0
	s_addc_u32 s1, s3, 0
	s_add_u32 s0, s0, 0xc4
	s_addc_u32 s1, s1, 0
	;; [unrolled: 2-line block ×3, first 2 shown]
	.p2align	6
.LBB19_579:                             ; =>This Inner Loop Header: Depth=1
	s_clause 0x1
	s_load_dwordx2 s[46:47], s[22:23], 0x4
	s_load_dword s43, s[22:23], 0xc
	s_load_dwordx2 s[48:49], s[0:1], 0x0
	s_add_u32 s22, s22, 12
	s_addc_u32 s23, s23, 0
	s_add_u32 s0, s0, 8
	s_addc_u32 s1, s1, 0
	s_add_i32 s44, s44, -1
	s_cmp_lg_u32 s44, 0
	s_waitcnt vmcnt(0) lgkmcnt(0)
	v_mul_hi_u32 v3, s47, v1
	v_add_nc_u32_e32 v3, v1, v3
	v_lshrrev_b32_e32 v4, s43, v3
	v_mul_lo_u32 v3, v4, s46
	v_sub_nc_u32_e32 v3, v1, v3
	v_mad_u64_u32 v[0:1], null, v3, s48, v[0:1]
	v_mad_u64_u32 v[2:3], null, v3, s49, v[2:3]
	v_mov_b32_e32 v1, v4
	s_cbranch_scc1 .LBB19_579
.LBB19_580:
	s_mov_b32 s0, 0
.LBB19_581:
	s_andn2_b32 vcc_lo, exec_lo, s0
	s_cbranch_vccnz .LBB19_584
; %bb.582:
	s_waitcnt lgkmcnt(0)
	v_mul_hi_u32 v0, s17, v8
	s_andn2_b32 vcc_lo, exec_lo, s31
	v_add_nc_u32_e32 v0, v8, v0
	v_lshrrev_b32_e32 v1, s18, v0
	v_mul_lo_u32 v0, v1, s16
	v_sub_nc_u32_e32 v2, v8, v0
	v_mul_lo_u32 v0, v2, s12
	v_mul_lo_u32 v2, v2, s13
	s_cbranch_vccnz .LBB19_584
; %bb.583:
	s_waitcnt vmcnt(0)
	v_mul_hi_u32 v3, s6, v1
	v_add_nc_u32_e32 v3, v1, v3
	v_lshrrev_b32_e32 v3, s7, v3
	v_mul_lo_u32 v3, v3, s19
	v_sub_nc_u32_e32 v3, v1, v3
	v_mad_u64_u32 v[0:1], null, v3, s14, v[0:1]
	v_mad_u64_u32 v[2:3], null, v3, s15, v[2:3]
.LBB19_584:
	s_waitcnt lgkmcnt(0)
	v_add_co_u32 v1, s0, s10, v2
	v_add_co_ci_u32_e64 v2, null, s11, 0, s0
	s_and_b32 s0, 0xffff, s30
	s_cmp_lt_i32 s0, 11
	s_cbranch_scc1 .LBB19_591
; %bb.585:
	s_cmp_gt_i32 s0, 25
	s_cbranch_scc0 .LBB19_592
; %bb.586:
	s_cmp_gt_i32 s0, 28
	s_cbranch_scc0 .LBB19_593
	;; [unrolled: 3-line block ×4, first 2 shown]
; %bb.589:
	s_cmp_eq_u32 s0, 46
	s_mov_b32 s23, 0
	s_cbranch_scc0 .LBB19_600
; %bb.590:
	global_load_dword v3, v[1:2], off
	s_mov_b32 s22, -1
	s_mov_b32 s1, 0
	s_waitcnt vmcnt(0)
	v_lshlrev_b32_e32 v3, 16, v3
	s_branch .LBB19_602
.LBB19_591:
	s_mov_b32 s23, -1
	s_mov_b32 s22, 0
	s_mov_b32 s1, s39
                                        ; implicit-def: $vgpr3
	s_branch .LBB19_667
.LBB19_592:
	s_mov_b32 s23, -1
	s_mov_b32 s22, 0
	s_mov_b32 s1, s39
                                        ; implicit-def: $vgpr3
	s_branch .LBB19_631
.LBB19_593:
	s_mov_b32 s23, -1
	s_mov_b32 s22, 0
	s_mov_b32 s1, s39
                                        ; implicit-def: $vgpr3
	s_branch .LBB19_612
.LBB19_594:
	s_mov_b32 s23, -1
	s_mov_b32 s22, 0
	s_mov_b32 s1, s39
                                        ; implicit-def: $vgpr3
	s_branch .LBB19_607
.LBB19_595:
	s_andn2_saveexec_b32 s42, s42
	s_cbranch_execz .LBB19_364
.LBB19_596:
	v_add_f32_e64 v0, 0x46000000, |v1|
	s_andn2_b32 s40, s40, exec_lo
	v_and_b32_e32 v0, 0xff, v0
	v_cmp_ne_u32_e32 vcc_lo, 0, v0
	s_and_b32 s43, vcc_lo, exec_lo
	s_or_b32 s40, s40, s43
	s_or_b32 exec_lo, exec_lo, s42
	v_mov_b32_e32 v2, 0
	s_and_saveexec_b32 s42, s40
	s_cbranch_execnz .LBB19_365
	s_branch .LBB19_366
.LBB19_597:
	s_mov_b32 s23, -1
	s_mov_b32 s22, 0
	s_mov_b32 s1, s39
	s_branch .LBB19_601
.LBB19_598:
	s_andn2_saveexec_b32 s42, s42
	s_cbranch_execz .LBB19_377
.LBB19_599:
	v_add_f32_e64 v0, 0x42800000, |v1|
	s_andn2_b32 s40, s40, exec_lo
	v_and_b32_e32 v0, 0xff, v0
	v_cmp_ne_u32_e32 vcc_lo, 0, v0
	s_and_b32 s43, vcc_lo, exec_lo
	s_or_b32 s40, s40, s43
	s_or_b32 exec_lo, exec_lo, s42
	v_mov_b32_e32 v2, 0
	s_and_saveexec_b32 s42, s40
	s_cbranch_execnz .LBB19_378
	s_branch .LBB19_379
.LBB19_600:
	s_mov_b32 s1, -1
	s_mov_b32 s22, 0
.LBB19_601:
                                        ; implicit-def: $vgpr3
.LBB19_602:
	s_and_b32 vcc_lo, exec_lo, s23
	s_cbranch_vccz .LBB19_606
; %bb.603:
	s_cmp_eq_u32 s0, 44
	s_cbranch_scc0 .LBB19_605
; %bb.604:
	global_load_ubyte v3, v[1:2], off
	s_mov_b32 s1, 0
	s_mov_b32 s22, -1
	s_waitcnt vmcnt(0)
	v_lshlrev_b32_e32 v4, 23, v3
	v_cmp_ne_u32_e32 vcc_lo, 0xff, v3
	v_cndmask_b32_e32 v4, 0x7f800001, v4, vcc_lo
	v_cmp_ne_u32_e32 vcc_lo, 0, v3
	v_cndmask_b32_e32 v3, 0x400000, v4, vcc_lo
	s_branch .LBB19_606
.LBB19_605:
	s_mov_b32 s1, -1
                                        ; implicit-def: $vgpr3
.LBB19_606:
	s_mov_b32 s23, 0
.LBB19_607:
	s_and_b32 vcc_lo, exec_lo, s23
	s_cbranch_vccz .LBB19_611
; %bb.608:
	s_cmp_eq_u32 s0, 29
	s_cbranch_scc0 .LBB19_610
; %bb.609:
	global_load_dwordx2 v[3:4], v[1:2], off
	s_mov_b32 s22, -1
	s_mov_b32 s1, 0
	s_mov_b32 s23, 0
	s_waitcnt vmcnt(0)
	v_ffbh_u32_e32 v5, v4
	v_min_u32_e32 v5, 32, v5
	v_lshlrev_b64 v[3:4], v5, v[3:4]
	v_min_u32_e32 v3, 1, v3
	v_or_b32_e32 v3, v4, v3
	v_sub_nc_u32_e32 v4, 32, v5
	v_cvt_f32_u32_e32 v3, v3
	v_ldexp_f32 v3, v3, v4
	s_branch .LBB19_612
.LBB19_610:
	s_mov_b32 s1, -1
                                        ; implicit-def: $vgpr3
.LBB19_611:
	s_mov_b32 s23, 0
.LBB19_612:
	s_and_b32 vcc_lo, exec_lo, s23
	s_cbranch_vccz .LBB19_630
; %bb.613:
	s_cmp_lt_i32 s0, 27
	s_cbranch_scc1 .LBB19_616
; %bb.614:
	s_cmp_gt_i32 s0, 27
	s_cbranch_scc0 .LBB19_617
; %bb.615:
	global_load_dword v3, v[1:2], off
	s_mov_b32 s22, 0
	s_waitcnt vmcnt(0)
	v_cvt_f32_u32_e32 v3, v3
	s_branch .LBB19_618
.LBB19_616:
	s_mov_b32 s22, -1
                                        ; implicit-def: $vgpr3
	s_branch .LBB19_621
.LBB19_617:
	s_mov_b32 s22, -1
                                        ; implicit-def: $vgpr3
.LBB19_618:
	s_andn2_b32 vcc_lo, exec_lo, s22
	s_cbranch_vccnz .LBB19_620
; %bb.619:
	global_load_ushort v3, v[1:2], off
	s_waitcnt vmcnt(0)
	v_cvt_f32_u32_e32 v3, v3
.LBB19_620:
	s_mov_b32 s22, 0
.LBB19_621:
	s_andn2_b32 vcc_lo, exec_lo, s22
	s_cbranch_vccnz .LBB19_629
; %bb.622:
	global_load_ubyte v4, v[1:2], off
	s_mov_b32 s22, 0
	s_mov_b32 s23, exec_lo
	s_waitcnt vmcnt(0)
	v_cmpx_lt_i16_e32 0x7f, v4
	s_xor_b32 s23, exec_lo, s23
	s_cbranch_execz .LBB19_643
; %bb.623:
	s_mov_b32 s22, -1
	s_mov_b32 s43, exec_lo
	v_cmpx_eq_u16_e32 0x80, v4
; %bb.624:
	s_xor_b32 s22, exec_lo, -1
; %bb.625:
	s_or_b32 exec_lo, exec_lo, s43
	s_and_b32 s22, s22, exec_lo
	s_or_saveexec_b32 s23, s23
	v_mov_b32_e32 v3, 0x7f800001
	s_xor_b32 exec_lo, exec_lo, s23
	s_cbranch_execnz .LBB19_644
.LBB19_626:
	s_or_b32 exec_lo, exec_lo, s23
	s_and_saveexec_b32 s23, s22
	s_cbranch_execz .LBB19_628
.LBB19_627:
	v_and_b32_e32 v3, 0xffff, v4
	v_lshlrev_b32_e32 v4, 24, v4
	v_and_b32_e32 v5, 7, v3
	v_bfe_u32 v9, v3, 3, 4
	v_and_b32_e32 v4, 0x80000000, v4
	v_ffbh_u32_e32 v6, v5
	v_cmp_eq_u32_e32 vcc_lo, 0, v9
	v_min_u32_e32 v6, 32, v6
	v_subrev_nc_u32_e32 v7, 28, v6
	v_sub_nc_u32_e32 v6, 29, v6
	v_lshlrev_b32_e32 v3, v7, v3
	v_cndmask_b32_e32 v6, v9, v6, vcc_lo
	v_and_b32_e32 v3, 7, v3
	v_cndmask_b32_e32 v3, v5, v3, vcc_lo
	v_lshl_add_u32 v5, v6, 23, 0x3b800000
	v_lshlrev_b32_e32 v3, 20, v3
	v_or3_b32 v3, v4, v5, v3
.LBB19_628:
	s_or_b32 exec_lo, exec_lo, s23
.LBB19_629:
	s_mov_b32 s22, -1
.LBB19_630:
	s_mov_b32 s23, 0
.LBB19_631:
	s_and_b32 vcc_lo, exec_lo, s23
	s_cbranch_vccz .LBB19_666
; %bb.632:
	s_cmp_gt_i32 s0, 22
	s_cbranch_scc0 .LBB19_642
; %bb.633:
	s_cmp_lt_i32 s0, 24
	s_cbranch_scc1 .LBB19_645
; %bb.634:
	s_cmp_gt_i32 s0, 24
	s_cbranch_scc0 .LBB19_646
; %bb.635:
	global_load_ubyte v4, v[1:2], off
	s_mov_b32 s22, 0
	s_mov_b32 s23, exec_lo
	s_waitcnt vmcnt(0)
	v_cmpx_lt_i16_e32 0x7f, v4
	s_xor_b32 s23, exec_lo, s23
	s_cbranch_execz .LBB19_658
; %bb.636:
	s_mov_b32 s22, -1
	s_mov_b32 s43, exec_lo
	v_cmpx_eq_u16_e32 0x80, v4
; %bb.637:
	s_xor_b32 s22, exec_lo, -1
; %bb.638:
	s_or_b32 exec_lo, exec_lo, s43
	s_and_b32 s22, s22, exec_lo
	s_or_saveexec_b32 s23, s23
	v_mov_b32_e32 v3, 0x7f800001
	s_xor_b32 exec_lo, exec_lo, s23
	s_cbranch_execnz .LBB19_659
.LBB19_639:
	s_or_b32 exec_lo, exec_lo, s23
	s_and_saveexec_b32 s23, s22
	s_cbranch_execz .LBB19_641
.LBB19_640:
	v_and_b32_e32 v3, 0xffff, v4
	v_lshlrev_b32_e32 v4, 24, v4
	v_and_b32_e32 v5, 3, v3
	v_bfe_u32 v9, v3, 2, 5
	v_and_b32_e32 v4, 0x80000000, v4
	v_ffbh_u32_e32 v6, v5
	v_cmp_eq_u32_e32 vcc_lo, 0, v9
	v_min_u32_e32 v6, 32, v6
	v_subrev_nc_u32_e32 v7, 29, v6
	v_sub_nc_u32_e32 v6, 30, v6
	v_lshlrev_b32_e32 v3, v7, v3
	v_cndmask_b32_e32 v6, v9, v6, vcc_lo
	v_and_b32_e32 v3, 3, v3
	v_cndmask_b32_e32 v3, v5, v3, vcc_lo
	v_lshl_add_u32 v5, v6, 23, 0x37800000
	v_lshlrev_b32_e32 v3, 21, v3
	v_or3_b32 v3, v4, v5, v3
.LBB19_641:
	s_or_b32 exec_lo, exec_lo, s23
	s_mov_b32 s22, 0
	s_branch .LBB19_647
.LBB19_642:
	s_mov_b32 s23, -1
                                        ; implicit-def: $vgpr3
	s_branch .LBB19_653
.LBB19_643:
	s_or_saveexec_b32 s23, s23
	v_mov_b32_e32 v3, 0x7f800001
	s_xor_b32 exec_lo, exec_lo, s23
	s_cbranch_execz .LBB19_626
.LBB19_644:
	v_cmp_ne_u16_e32 vcc_lo, 0, v4
	v_mov_b32_e32 v3, 0
	s_andn2_b32 s22, s22, exec_lo
	s_and_b32 s43, vcc_lo, exec_lo
	s_or_b32 s22, s22, s43
	s_or_b32 exec_lo, exec_lo, s23
	s_and_saveexec_b32 s23, s22
	s_cbranch_execnz .LBB19_627
	s_branch .LBB19_628
.LBB19_645:
	s_mov_b32 s22, -1
                                        ; implicit-def: $vgpr3
	s_branch .LBB19_650
.LBB19_646:
	s_mov_b32 s22, -1
                                        ; implicit-def: $vgpr3
.LBB19_647:
	s_and_b32 vcc_lo, exec_lo, s22
	s_cbranch_vccz .LBB19_649
; %bb.648:
	global_load_ubyte v3, v[1:2], off
	s_waitcnt vmcnt(0)
	v_lshlrev_b32_e32 v3, 24, v3
	v_and_b32_e32 v4, 0x7f000000, v3
	v_ffbh_u32_e32 v5, v4
	v_add_nc_u32_e32 v7, 0x1000000, v4
	v_cmp_ne_u32_e32 vcc_lo, 0, v4
	v_min_u32_e32 v5, 32, v5
	v_sub_nc_u32_e64 v5, v5, 4 clamp
	v_lshlrev_b32_e32 v6, v5, v4
	v_lshlrev_b32_e32 v5, 23, v5
	v_lshrrev_b32_e32 v6, 4, v6
	v_sub_nc_u32_e32 v5, v6, v5
	v_ashrrev_i32_e32 v6, 8, v7
	v_add_nc_u32_e32 v5, 0x3c000000, v5
	v_and_or_b32 v5, 0x7f800000, v6, v5
	v_cndmask_b32_e32 v4, 0, v5, vcc_lo
	v_and_or_b32 v3, 0x80000000, v3, v4
.LBB19_649:
	s_mov_b32 s22, 0
.LBB19_650:
	s_andn2_b32 vcc_lo, exec_lo, s22
	s_cbranch_vccnz .LBB19_652
; %bb.651:
	global_load_ubyte v3, v[1:2], off
	s_waitcnt vmcnt(0)
	v_lshlrev_b32_e32 v4, 25, v3
	v_lshlrev_b16 v3, 8, v3
	v_lshrrev_b32_e32 v5, 4, v4
	v_and_or_b32 v6, 0x7f00, v3, 0.5
	v_cmp_gt_u32_e32 vcc_lo, 0x8000000, v4
	v_bfe_i32 v3, v3, 0, 16
	v_or_b32_e32 v5, 0x70000000, v5
	v_add_f32_e32 v6, -0.5, v6
	v_mul_f32_e32 v5, 0x7800000, v5
	v_cndmask_b32_e32 v4, v5, v6, vcc_lo
	v_and_or_b32 v3, 0x80000000, v3, v4
.LBB19_652:
	s_mov_b32 s23, 0
	s_mov_b32 s22, -1
.LBB19_653:
	s_andn2_b32 vcc_lo, exec_lo, s23
	s_cbranch_vccnz .LBB19_666
; %bb.654:
	s_cmp_gt_i32 s0, 14
	s_cbranch_scc0 .LBB19_657
; %bb.655:
	s_cmp_eq_u32 s0, 15
	s_cbranch_scc0 .LBB19_660
; %bb.656:
	global_load_ushort v3, v[1:2], off
	s_mov_b32 s22, -1
	s_mov_b32 s1, 0
	s_waitcnt vmcnt(0)
	v_lshlrev_b32_e32 v3, 16, v3
	s_branch .LBB19_661
.LBB19_657:
	s_mov_b32 s23, -1
                                        ; implicit-def: $vgpr3
	s_branch .LBB19_662
.LBB19_658:
	s_or_saveexec_b32 s23, s23
	v_mov_b32_e32 v3, 0x7f800001
	s_xor_b32 exec_lo, exec_lo, s23
	s_cbranch_execz .LBB19_639
.LBB19_659:
	v_cmp_ne_u16_e32 vcc_lo, 0, v4
	v_mov_b32_e32 v3, 0
	s_andn2_b32 s22, s22, exec_lo
	s_and_b32 s43, vcc_lo, exec_lo
	s_or_b32 s22, s22, s43
	s_or_b32 exec_lo, exec_lo, s23
	s_and_saveexec_b32 s23, s22
	s_cbranch_execnz .LBB19_640
	s_branch .LBB19_641
.LBB19_660:
	s_mov_b32 s1, -1
                                        ; implicit-def: $vgpr3
.LBB19_661:
	s_mov_b32 s23, 0
.LBB19_662:
	s_and_b32 vcc_lo, exec_lo, s23
	s_cbranch_vccz .LBB19_666
; %bb.663:
	s_cmp_eq_u32 s0, 11
	s_cbranch_scc0 .LBB19_665
; %bb.664:
	global_load_ubyte v3, v[1:2], off
	s_mov_b32 s1, 0
	s_mov_b32 s22, -1
	s_waitcnt vmcnt(0)
	v_cmp_ne_u16_e32 vcc_lo, 0, v3
	v_cndmask_b32_e64 v3, 0, 1.0, vcc_lo
	s_branch .LBB19_666
.LBB19_665:
	s_mov_b32 s1, -1
                                        ; implicit-def: $vgpr3
.LBB19_666:
	s_mov_b32 s23, 0
.LBB19_667:
	s_and_b32 vcc_lo, exec_lo, s23
	s_cbranch_vccz .LBB19_716
; %bb.668:
	s_cmp_lt_i32 s0, 5
	s_cbranch_scc1 .LBB19_673
; %bb.669:
	s_cmp_lt_i32 s0, 8
	s_cbranch_scc1 .LBB19_674
	;; [unrolled: 3-line block ×3, first 2 shown]
; %bb.671:
	s_cmp_gt_i32 s0, 9
	s_cbranch_scc0 .LBB19_676
; %bb.672:
	global_load_dwordx2 v[3:4], v[1:2], off
	s_mov_b32 s22, 0
	s_waitcnt vmcnt(0)
	v_cvt_f32_f64_e32 v3, v[3:4]
	s_branch .LBB19_677
.LBB19_673:
	s_mov_b32 s22, -1
                                        ; implicit-def: $vgpr3
	s_branch .LBB19_695
.LBB19_674:
	s_mov_b32 s22, -1
                                        ; implicit-def: $vgpr3
	s_branch .LBB19_683
.LBB19_675:
	s_mov_b32 s22, -1
                                        ; implicit-def: $vgpr3
	s_branch .LBB19_680
.LBB19_676:
	s_mov_b32 s22, -1
                                        ; implicit-def: $vgpr3
.LBB19_677:
	s_andn2_b32 vcc_lo, exec_lo, s22
	s_cbranch_vccnz .LBB19_679
; %bb.678:
	global_load_dword v3, v[1:2], off
.LBB19_679:
	s_mov_b32 s22, 0
.LBB19_680:
	s_andn2_b32 vcc_lo, exec_lo, s22
	s_cbranch_vccnz .LBB19_682
; %bb.681:
	global_load_dword v3, v[1:2], off
	s_waitcnt vmcnt(0)
	v_cvt_f32_f16_e32 v3, v3
.LBB19_682:
	s_mov_b32 s22, 0
.LBB19_683:
	s_andn2_b32 vcc_lo, exec_lo, s22
	s_cbranch_vccnz .LBB19_694
; %bb.684:
	s_cmp_lt_i32 s0, 6
	s_cbranch_scc1 .LBB19_687
; %bb.685:
	s_cmp_gt_i32 s0, 6
	s_cbranch_scc0 .LBB19_688
; %bb.686:
	global_load_dwordx2 v[3:4], v[1:2], off
	s_mov_b32 s22, 0
	s_waitcnt vmcnt(0)
	v_cvt_f32_f64_e32 v3, v[3:4]
	s_branch .LBB19_689
.LBB19_687:
	s_mov_b32 s22, -1
                                        ; implicit-def: $vgpr3
	s_branch .LBB19_692
.LBB19_688:
	s_mov_b32 s22, -1
                                        ; implicit-def: $vgpr3
.LBB19_689:
	s_andn2_b32 vcc_lo, exec_lo, s22
	s_cbranch_vccnz .LBB19_691
; %bb.690:
	global_load_dword v3, v[1:2], off
.LBB19_691:
	s_mov_b32 s22, 0
.LBB19_692:
	s_andn2_b32 vcc_lo, exec_lo, s22
	s_cbranch_vccnz .LBB19_694
; %bb.693:
	global_load_ushort v3, v[1:2], off
	s_waitcnt vmcnt(0)
	v_cvt_f32_f16_e32 v3, v3
.LBB19_694:
	s_mov_b32 s22, 0
.LBB19_695:
	s_andn2_b32 vcc_lo, exec_lo, s22
	s_cbranch_vccnz .LBB19_715
; %bb.696:
	s_cmp_lt_i32 s0, 2
	s_cbranch_scc1 .LBB19_700
; %bb.697:
	s_cmp_lt_i32 s0, 3
	s_cbranch_scc1 .LBB19_701
; %bb.698:
	s_cmp_gt_i32 s0, 3
	s_cbranch_scc0 .LBB19_702
; %bb.699:
	global_load_dwordx2 v[3:4], v[1:2], off
	s_mov_b32 s22, 0
	s_waitcnt vmcnt(0)
	v_xor_b32_e32 v5, v3, v4
	v_ffbh_i32_e32 v6, v4
	v_ashrrev_i32_e32 v5, 31, v5
	v_add_nc_u32_e32 v6, -1, v6
	v_add_nc_u32_e32 v5, 32, v5
	v_min_u32_e32 v5, v6, v5
	v_lshlrev_b64 v[3:4], v5, v[3:4]
	v_min_u32_e32 v3, 1, v3
	v_or_b32_e32 v3, v4, v3
	v_sub_nc_u32_e32 v4, 32, v5
	v_cvt_f32_i32_e32 v3, v3
	v_ldexp_f32 v3, v3, v4
	s_branch .LBB19_703
.LBB19_700:
	s_mov_b32 s22, -1
                                        ; implicit-def: $vgpr3
	s_branch .LBB19_709
.LBB19_701:
	s_mov_b32 s22, -1
                                        ; implicit-def: $vgpr3
	s_branch .LBB19_706
.LBB19_702:
	s_mov_b32 s22, -1
                                        ; implicit-def: $vgpr3
.LBB19_703:
	s_andn2_b32 vcc_lo, exec_lo, s22
	s_cbranch_vccnz .LBB19_705
; %bb.704:
	global_load_dword v3, v[1:2], off
	s_waitcnt vmcnt(0)
	v_cvt_f32_i32_e32 v3, v3
.LBB19_705:
	s_mov_b32 s22, 0
.LBB19_706:
	s_andn2_b32 vcc_lo, exec_lo, s22
	s_cbranch_vccnz .LBB19_708
; %bb.707:
	global_load_sshort v3, v[1:2], off
	s_waitcnt vmcnt(0)
	v_cvt_f32_i32_e32 v3, v3
.LBB19_708:
	s_mov_b32 s22, 0
.LBB19_709:
	s_andn2_b32 vcc_lo, exec_lo, s22
	s_cbranch_vccnz .LBB19_715
; %bb.710:
	s_cmp_gt_i32 s0, 0
	s_mov_b32 s0, 0
	s_cbranch_scc0 .LBB19_712
; %bb.711:
	global_load_sbyte v3, v[1:2], off
	s_waitcnt vmcnt(0)
	v_cvt_f32_i32_e32 v3, v3
	s_branch .LBB19_713
.LBB19_712:
	s_mov_b32 s0, -1
                                        ; implicit-def: $vgpr3
.LBB19_713:
	s_andn2_b32 vcc_lo, exec_lo, s0
	s_cbranch_vccnz .LBB19_715
; %bb.714:
	global_load_ubyte v1, v[1:2], off
	s_waitcnt vmcnt(0)
	v_cvt_f32_ubyte0_e32 v3, v1
.LBB19_715:
	s_mov_b32 s22, -1
.LBB19_716:
	s_andn2_b32 vcc_lo, exec_lo, s22
	s_cbranch_vccnz .LBB19_736
; %bb.717:
	s_mov_b32 s22, exec_lo
                                        ; implicit-def: $vgpr1
	s_waitcnt vmcnt(0)
	v_cmpx_ge_f32_e64 0x41000000, |v3|
	s_xor_b32 s22, exec_lo, s22
	s_cbranch_execz .LBB19_723
; %bb.718:
	v_fma_f32 v1, |v3|, 0.5, -2.0
	s_mov_b32 s0, 0x224cf950
	v_mul_f32_e64 v5, 0x3fb8aa3b, |v3|
	v_cmp_ngt_f32_e64 vcc_lo, 0xc2ce8ed0, |v3|
	v_fmaak_f32 v2, s0, v1, 0xa3c2be86
	v_cmp_nlt_f32_e64 s0, 0x42b17218, |v3|
	v_rndne_f32_e32 v6, v5
	v_fma_f32 v7, 0x3fb8aa3b, |v3|, -v5
	v_fmaak_f32 v4, v1, v2, 0xa24cf950
	v_sub_f32_e32 v5, v5, v6
	v_fma_f32 v7, 0x32a5705f, |v3|, v7
	v_add_f32_e32 v4, 0x25331f1f, v4
	v_add_f32_e32 v5, v5, v7
	v_fma_f32 v2, v1, v4, -v2
	v_add_f32_e32 v2, 0xa69f5554, v2
	v_fma_f32 v4, v1, v2, -v4
	;; [unrolled: 2-line block ×26, first 2 shown]
	v_exp_f32_e32 v2, v5
	v_cvt_i32_f32_e32 v5, v6
	v_add_f32_e32 v1, 0x3e81531c, v1
	v_sub_f32_e32 v1, v1, v4
	v_ldexp_f32 v2, v2, v5
	v_mul_f32_e32 v1, 0.5, v1
	v_cndmask_b32_e32 v4, 0, v2, vcc_lo
	v_cmp_ngt_f32_e32 vcc_lo, 0, v3
	v_mul_f32_e64 v2, |v3|, v1
	v_cndmask_b32_e64 v3, 0x7f800000, v4, s0
                                        ; implicit-def: $vgpr1
	s_and_saveexec_b32 s0, vcc_lo
	s_xor_b32 s0, exec_lo, s0
; %bb.719:
	v_mul_f32_e32 v1, v3, v2
                                        ; implicit-def: $vgpr3
                                        ; implicit-def: $vgpr2
; %bb.720:
	s_andn2_saveexec_b32 s0, s0
; %bb.721:
	v_mul_f32_e64 v1, v2, -v3
; %bb.722:
	s_or_b32 exec_lo, exec_lo, s0
                                        ; implicit-def: $vgpr3
.LBB19_723:
	s_andn2_saveexec_b32 s22, s22
	s_cbranch_execz .LBB19_729
; %bb.724:
	v_and_b32_e32 v1, 0x7fffffff, v3
	s_mov_b32 s0, 0x230aab6e
	v_div_scale_f32 v2, null, v1, v1, 0x42000000
	v_div_scale_f32 v1, vcc_lo, 0x42000000, v1, 0x42000000
	v_rcp_f32_e32 v4, v2
	v_fma_f32 v5, -v2, v4, 1.0
	v_fmac_f32_e32 v4, v5, v4
	v_mul_f32_e32 v5, v1, v4
	v_fma_f32 v6, -v2, v5, v1
	v_fmac_f32_e32 v5, v6, v4
	v_fma_f32 v1, -v2, v5, v1
	v_div_fmas_f32 v1, v1, v4, v5
	v_mul_f32_e64 v5, 0x3fb8aa3b, |v3|
	v_cmp_ngt_f32_e64 vcc_lo, 0xc2ce8ed0, |v3|
	v_div_fixup_f32 v1, v1, |v3|, 0x42000000
	v_rndne_f32_e32 v6, v5
	v_fma_f32 v7, 0x3fb8aa3b, |v3|, -v5
	v_add_f32_e32 v1, -2.0, v1
	v_sub_f32_e32 v5, v5, v6
	v_fma_f32 v7, 0x32a5705f, |v3|, v7
	v_cvt_i32_f32_e32 v6, v6
	v_fmaak_f32 v2, s0, v1, 0x22a2dc57
	v_cmp_nlt_f32_e64 s0, 0x42b17218, |v3|
	v_add_f32_e32 v5, v5, v7
	v_fmaak_f32 v4, v1, v2, 0xa30aab6e
	v_exp_f32_e32 v5, v5
	v_add_f32_e32 v4, 0xa456751e, v4
	v_fma_f32 v2, v1, v4, -v2
	v_ldexp_f32 v5, v5, v6
	v_add_f32_e32 v2, 0xa4140365, v2
	v_fma_f32 v4, v1, v2, -v4
	v_add_f32_e32 v4, 0x25aac8b0, v4
	v_fma_f32 v2, v1, v4, -v2
	;; [unrolled: 2-line block ×21, first 2 shown]
	v_cndmask_b32_e32 v2, 0, v5, vcc_lo
	v_add_f32_e32 v1, 0x3f4750c6, v1
	v_cndmask_b32_e64 v2, 0x7f800000, v2, s0
	s_mov_b32 s0, exec_lo
	v_sub_f32_e32 v4, v1, v4
                                        ; implicit-def: $vgpr1
	v_cmpx_ngt_f32_e32 0, v3
	s_xor_b32 s23, exec_lo, s0
	s_cbranch_execz .LBB19_726
; %bb.725:
	v_mul_f32_e64 v1, 0x4f800000, |v3|
	v_cmp_gt_f32_e64 vcc_lo, 0xf800000, |v3|
	v_mul_f32_e32 v4, 0.5, v4
	v_cndmask_b32_e64 v1, |v3|, v1, vcc_lo
	v_mul_f32_e32 v2, v2, v4
	v_sqrt_f32_e32 v3, v1
	v_add_nc_u32_e32 v5, -1, v3
	v_add_nc_u32_e32 v6, 1, v3
	v_fma_f32 v7, -v5, v3, v1
	v_fma_f32 v9, -v6, v3, v1
	v_cmp_ge_f32_e64 s0, 0, v7
	v_cndmask_b32_e64 v3, v3, v5, s0
	v_cmp_lt_f32_e64 s0, 0, v9
	v_cndmask_b32_e64 v3, v3, v6, s0
	v_mul_f32_e32 v5, 0x37800000, v3
	v_cndmask_b32_e32 v3, v3, v5, vcc_lo
	v_cmp_class_f32_e64 vcc_lo, v1, 0x260
	v_cndmask_b32_e32 v1, v3, v1, vcc_lo
	v_div_scale_f32 v3, null, v1, v1, v2
	v_rcp_f32_e32 v4, v3
	v_fma_f32 v5, -v3, v4, 1.0
	v_fmac_f32_e32 v4, v5, v4
	v_div_scale_f32 v5, vcc_lo, v2, v1, v2
	v_mul_f32_e32 v6, v5, v4
	v_fma_f32 v7, -v3, v6, v5
	v_fmac_f32_e32 v6, v7, v4
	v_fma_f32 v3, -v3, v6, v5
	v_div_fmas_f32 v3, v3, v4, v6
                                        ; implicit-def: $vgpr4
	v_div_fixup_f32 v1, v3, v1, v2
                                        ; implicit-def: $vgpr3
                                        ; implicit-def: $vgpr2
.LBB19_726:
	s_andn2_saveexec_b32 s23, s23
	s_cbranch_execz .LBB19_728
; %bb.727:
	v_mul_f32_e64 v1, 0x4f800000, |v3|
	v_cmp_gt_f32_e64 vcc_lo, 0xf800000, |v3|
	v_mul_f32_e32 v4, -0.5, v4
	v_cndmask_b32_e64 v1, |v3|, v1, vcc_lo
	v_mul_f32_e32 v2, v2, v4
	v_sqrt_f32_e32 v3, v1
	v_add_nc_u32_e32 v5, -1, v3
	v_add_nc_u32_e32 v6, 1, v3
	v_fma_f32 v7, -v5, v3, v1
	v_fma_f32 v9, -v6, v3, v1
	v_cmp_ge_f32_e64 s0, 0, v7
	v_cndmask_b32_e64 v3, v3, v5, s0
	v_cmp_lt_f32_e64 s0, 0, v9
	v_cndmask_b32_e64 v3, v3, v6, s0
	v_mul_f32_e32 v5, 0x37800000, v3
	v_cndmask_b32_e32 v3, v3, v5, vcc_lo
	v_cmp_class_f32_e64 vcc_lo, v1, 0x260
	v_cndmask_b32_e32 v1, v3, v1, vcc_lo
	v_div_scale_f32 v3, null, v1, v1, v2
	v_rcp_f32_e32 v4, v3
	v_fma_f32 v5, -v3, v4, 1.0
	v_fmac_f32_e32 v4, v5, v4
	v_div_scale_f32 v5, vcc_lo, v2, v1, v2
	v_mul_f32_e32 v6, v5, v4
	v_fma_f32 v7, -v3, v6, v5
	v_fmac_f32_e32 v6, v7, v4
	v_fma_f32 v3, -v3, v6, v5
	v_div_fmas_f32 v3, v3, v4, v6
	v_div_fixup_f32 v1, v3, v1, v2
.LBB19_728:
	s_or_b32 exec_lo, exec_lo, s23
.LBB19_729:
	s_or_b32 exec_lo, exec_lo, s22
	v_add_co_u32 v3, s0, s8, v0
	v_add_co_ci_u32_e64 v4, null, s9, 0, s0
	s_and_b32 s22, s29, 0xff
	s_cmp_lt_i32 s22, 11
	s_cbranch_scc1 .LBB19_737
; %bb.730:
	s_and_b32 s23, 0xffff, s22
	s_cmp_gt_i32 s23, 25
	s_cbranch_scc0 .LBB19_738
; %bb.731:
	s_cmp_gt_i32 s23, 28
	s_cbranch_scc0 .LBB19_739
; %bb.732:
	;; [unrolled: 3-line block ×4, first 2 shown]
	s_mov_b32 s44, 0
	s_mov_b32 s0, -1
	s_cmp_eq_u32 s23, 46
	s_mov_b32 s43, 0
	s_cbranch_scc0 .LBB19_742
; %bb.735:
	v_bfe_u32 v0, v1, 16, 1
	v_cmp_o_f32_e32 vcc_lo, v1, v1
	v_mov_b32_e32 v2, 0x7fc0
	s_mov_b32 s43, -1
	s_mov_b32 s0, 0
	v_add3_u32 v0, v1, v0, 0x7fff
	v_cndmask_b32_sdwa v0, v2, v0, vcc_lo dst_sel:DWORD dst_unused:UNUSED_PAD src0_sel:DWORD src1_sel:WORD_1
	global_store_dword v[3:4], v0, off
	s_branch .LBB19_742
.LBB19_736:
	s_mov_b32 s43, 0
	s_mov_b32 s0, s40
	s_branch .LBB19_853
.LBB19_737:
	s_mov_b32 s23, -1
	s_mov_b32 s43, 0
	s_mov_b32 s0, s40
	s_branch .LBB19_811
.LBB19_738:
	s_mov_b32 s44, -1
	s_mov_b32 s43, 0
	s_mov_b32 s0, s40
	s_branch .LBB19_769
.LBB19_739:
	s_mov_b32 s44, -1
	s_mov_b32 s43, 0
	s_mov_b32 s0, s40
	s_branch .LBB19_752
.LBB19_740:
	s_mov_b32 s44, -1
	s_mov_b32 s43, 0
	s_mov_b32 s0, s40
	s_branch .LBB19_748
.LBB19_741:
	s_mov_b32 s44, -1
	s_mov_b32 s43, 0
	s_mov_b32 s0, s40
.LBB19_742:
	s_and_b32 vcc_lo, exec_lo, s44
	s_cbranch_vccz .LBB19_747
; %bb.743:
	s_cmp_eq_u32 s23, 44
	s_mov_b32 s0, -1
	s_cbranch_scc0 .LBB19_747
; %bb.744:
	v_bfe_u32 v2, v1, 23, 8
	v_mov_b32_e32 v0, 0xff
	s_mov_b32 s43, exec_lo
	v_cmpx_ne_u32_e32 0xff, v2
	s_cbranch_execz .LBB19_746
; %bb.745:
	v_and_b32_e32 v0, 0x400000, v1
	v_and_or_b32 v2, 0x3fffff, v1, v2
	v_cmp_ne_u32_e32 vcc_lo, 0, v0
	v_cmp_ne_u32_e64 s0, 0, v2
	v_lshrrev_b32_e32 v0, 23, v1
	s_and_b32 s0, vcc_lo, s0
	v_cndmask_b32_e64 v2, 0, 1, s0
	v_add_nc_u32_e32 v0, v0, v2
.LBB19_746:
	s_or_b32 exec_lo, exec_lo, s43
	s_mov_b32 s43, -1
	s_mov_b32 s0, 0
	global_store_byte v[3:4], v0, off
.LBB19_747:
	s_mov_b32 s44, 0
.LBB19_748:
	s_and_b32 vcc_lo, exec_lo, s44
	s_cbranch_vccz .LBB19_751
; %bb.749:
	s_cmp_eq_u32 s23, 29
	s_mov_b32 s0, -1
	s_cbranch_scc0 .LBB19_751
; %bb.750:
	v_trunc_f32_e32 v0, v1
	s_mov_b32 s43, -1
	s_mov_b32 s0, 0
	s_mov_b32 s44, 0
	v_mul_f32_e32 v2, 0x2f800000, v0
	v_floor_f32_e32 v2, v2
	v_fmamk_f32 v0, v2, 0xcf800000, v0
	v_cvt_u32_f32_e32 v6, v2
	v_cvt_u32_f32_e32 v5, v0
	global_store_dwordx2 v[3:4], v[5:6], off
	s_branch .LBB19_752
.LBB19_751:
	s_mov_b32 s44, 0
.LBB19_752:
	s_and_b32 vcc_lo, exec_lo, s44
	s_cbranch_vccz .LBB19_768
; %bb.753:
	s_cmp_lt_i32 s23, 27
	s_mov_b32 s43, -1
	s_cbranch_scc1 .LBB19_759
; %bb.754:
	v_cvt_u32_f32_e32 v0, v1
	s_cmp_gt_i32 s23, 27
	s_cbranch_scc0 .LBB19_756
; %bb.755:
	s_mov_b32 s43, 0
	global_store_dword v[3:4], v0, off
.LBB19_756:
	s_andn2_b32 vcc_lo, exec_lo, s43
	s_cbranch_vccnz .LBB19_758
; %bb.757:
	global_store_short v[3:4], v0, off
.LBB19_758:
	s_mov_b32 s43, 0
.LBB19_759:
	s_andn2_b32 vcc_lo, exec_lo, s43
	s_cbranch_vccnz .LBB19_767
; %bb.760:
	v_and_b32_e32 v0, 0x7fffffff, v1
	v_mov_b32_e32 v2, 0x80
	s_mov_b32 s43, exec_lo
	v_cmpx_gt_u32_e32 0x43800000, v0
	s_cbranch_execz .LBB19_766
; %bb.761:
	v_cmp_lt_u32_e32 vcc_lo, 0x3bffffff, v0
	s_mov_b32 s44, 0
                                        ; implicit-def: $vgpr0
	s_and_saveexec_b32 s45, vcc_lo
	s_xor_b32 s45, exec_lo, s45
	s_cbranch_execz .LBB19_883
; %bb.762:
	v_bfe_u32 v0, v1, 20, 1
	s_mov_b32 s44, exec_lo
	v_add3_u32 v0, v1, v0, 0x487ffff
	v_lshrrev_b32_e32 v0, 20, v0
	s_andn2_saveexec_b32 s45, s45
	s_cbranch_execnz .LBB19_884
.LBB19_763:
	s_or_b32 exec_lo, exec_lo, s45
	v_mov_b32_e32 v2, 0
	s_and_saveexec_b32 s45, s44
.LBB19_764:
	v_lshrrev_b32_e32 v2, 24, v1
	v_and_or_b32 v2, 0x80, v2, v0
.LBB19_765:
	s_or_b32 exec_lo, exec_lo, s45
.LBB19_766:
	s_or_b32 exec_lo, exec_lo, s43
	global_store_byte v[3:4], v2, off
.LBB19_767:
	s_mov_b32 s43, -1
.LBB19_768:
	s_mov_b32 s44, 0
.LBB19_769:
	s_and_b32 vcc_lo, exec_lo, s44
	s_cbranch_vccz .LBB19_810
; %bb.770:
	s_cmp_gt_i32 s23, 22
	s_mov_b32 s44, -1
	s_cbranch_scc0 .LBB19_802
; %bb.771:
	s_cmp_lt_i32 s23, 24
	s_mov_b32 s43, -1
	s_cbranch_scc1 .LBB19_791
; %bb.772:
	s_cmp_gt_i32 s23, 24
	s_cbranch_scc0 .LBB19_780
; %bb.773:
	v_and_b32_e32 v0, 0x7fffffff, v1
	v_mov_b32_e32 v2, 0x80
	s_mov_b32 s43, exec_lo
	v_cmpx_gt_u32_e32 0x47800000, v0
	s_cbranch_execz .LBB19_779
; %bb.774:
	v_cmp_lt_u32_e32 vcc_lo, 0x37ffffff, v0
	s_mov_b32 s44, 0
                                        ; implicit-def: $vgpr0
	s_and_saveexec_b32 s45, vcc_lo
	s_xor_b32 s45, exec_lo, s45
	s_cbranch_execz .LBB19_886
; %bb.775:
	v_bfe_u32 v0, v1, 21, 1
	s_mov_b32 s44, exec_lo
	v_add3_u32 v0, v1, v0, 0x88fffff
	v_lshrrev_b32_e32 v0, 21, v0
	s_andn2_saveexec_b32 s45, s45
	s_cbranch_execnz .LBB19_887
.LBB19_776:
	s_or_b32 exec_lo, exec_lo, s45
	v_mov_b32_e32 v2, 0
	s_and_saveexec_b32 s45, s44
.LBB19_777:
	v_lshrrev_b32_e32 v2, 24, v1
	v_and_or_b32 v2, 0x80, v2, v0
.LBB19_778:
	s_or_b32 exec_lo, exec_lo, s45
.LBB19_779:
	s_or_b32 exec_lo, exec_lo, s43
	s_mov_b32 s43, 0
	global_store_byte v[3:4], v2, off
.LBB19_780:
	s_and_b32 vcc_lo, exec_lo, s43
	s_cbranch_vccz .LBB19_790
; %bb.781:
	v_and_b32_e32 v2, 0x7fffffff, v1
	s_mov_b32 s43, exec_lo
                                        ; implicit-def: $vgpr0
	v_cmpx_gt_u32_e32 0x43f00000, v2
	s_xor_b32 s43, exec_lo, s43
	s_cbranch_execz .LBB19_787
; %bb.782:
	s_mov_b32 s44, exec_lo
                                        ; implicit-def: $vgpr0
	v_cmpx_lt_u32_e32 0x3c7fffff, v2
	s_xor_b32 s44, exec_lo, s44
; %bb.783:
	v_bfe_u32 v0, v1, 20, 1
	v_add3_u32 v0, v1, v0, 0x407ffff
	v_and_b32_e32 v2, 0xff00000, v0
	v_lshrrev_b32_e32 v0, 20, v0
	v_cmp_ne_u32_e32 vcc_lo, 0x7f00000, v2
	v_cndmask_b32_e32 v0, 0x7e, v0, vcc_lo
; %bb.784:
	s_andn2_saveexec_b32 s44, s44
; %bb.785:
	v_add_f32_e64 v0, 0x46800000, |v1|
; %bb.786:
	s_or_b32 exec_lo, exec_lo, s44
                                        ; implicit-def: $vgpr2
.LBB19_787:
	s_andn2_saveexec_b32 s43, s43
; %bb.788:
	v_mov_b32_e32 v0, 0x7f
	v_cmp_lt_u32_e32 vcc_lo, 0x7f800000, v2
	v_cndmask_b32_e32 v0, 0x7e, v0, vcc_lo
; %bb.789:
	s_or_b32 exec_lo, exec_lo, s43
	v_lshrrev_b32_e32 v2, 24, v1
	v_and_or_b32 v0, 0x80, v2, v0
	global_store_byte v[3:4], v0, off
.LBB19_790:
	s_mov_b32 s43, 0
.LBB19_791:
	s_andn2_b32 vcc_lo, exec_lo, s43
	s_cbranch_vccnz .LBB19_801
; %bb.792:
	v_and_b32_e32 v2, 0x7fffffff, v1
	s_mov_b32 s43, exec_lo
                                        ; implicit-def: $vgpr0
	v_cmpx_gt_u32_e32 0x47800000, v2
	s_xor_b32 s43, exec_lo, s43
	s_cbranch_execz .LBB19_798
; %bb.793:
	s_mov_b32 s44, exec_lo
                                        ; implicit-def: $vgpr0
	v_cmpx_lt_u32_e32 0x387fffff, v2
	s_xor_b32 s44, exec_lo, s44
; %bb.794:
	v_bfe_u32 v0, v1, 21, 1
	v_add3_u32 v0, v1, v0, 0x80fffff
	v_lshrrev_b32_e32 v0, 21, v0
; %bb.795:
	s_andn2_saveexec_b32 s44, s44
; %bb.796:
	v_add_f32_e64 v0, 0x43000000, |v1|
; %bb.797:
	s_or_b32 exec_lo, exec_lo, s44
                                        ; implicit-def: $vgpr2
.LBB19_798:
	s_andn2_saveexec_b32 s43, s43
; %bb.799:
	v_mov_b32_e32 v0, 0x7f
	v_cmp_lt_u32_e32 vcc_lo, 0x7f800000, v2
	v_cndmask_b32_e32 v0, 0x7c, v0, vcc_lo
; %bb.800:
	s_or_b32 exec_lo, exec_lo, s43
	v_lshrrev_b32_e32 v2, 24, v1
	v_and_or_b32 v0, 0x80, v2, v0
	global_store_byte v[3:4], v0, off
.LBB19_801:
	s_mov_b32 s44, 0
	s_mov_b32 s43, -1
.LBB19_802:
	s_andn2_b32 vcc_lo, exec_lo, s44
	s_cbranch_vccnz .LBB19_810
; %bb.803:
	s_cmp_gt_i32 s23, 14
	s_mov_b32 s44, -1
	s_cbranch_scc0 .LBB19_807
; %bb.804:
	s_cmp_eq_u32 s23, 15
	s_mov_b32 s0, -1
	s_cbranch_scc0 .LBB19_806
; %bb.805:
	v_bfe_u32 v0, v1, 16, 1
	v_cmp_o_f32_e32 vcc_lo, v1, v1
	v_mov_b32_e32 v2, 0x7fc0
	s_mov_b32 s43, -1
	s_mov_b32 s0, 0
	v_add3_u32 v0, v1, v0, 0x7fff
	v_cndmask_b32_sdwa v0, v2, v0, vcc_lo dst_sel:DWORD dst_unused:UNUSED_PAD src0_sel:DWORD src1_sel:WORD_1
	global_store_short v[3:4], v0, off
.LBB19_806:
	s_mov_b32 s44, 0
.LBB19_807:
	s_and_b32 vcc_lo, exec_lo, s44
	s_cbranch_vccz .LBB19_810
; %bb.808:
	s_cmp_eq_u32 s23, 11
	s_mov_b32 s0, -1
	s_cbranch_scc0 .LBB19_810
; %bb.809:
	v_cmp_neq_f32_e32 vcc_lo, 0, v1
	s_mov_b32 s0, 0
	s_mov_b32 s43, -1
	v_cndmask_b32_e64 v0, 0, 1, vcc_lo
	global_store_byte v[3:4], v0, off
.LBB19_810:
	s_mov_b32 s23, 0
.LBB19_811:
	s_and_b32 vcc_lo, exec_lo, s23
	s_cbranch_vccz .LBB19_850
; %bb.812:
	s_and_b32 s22, 0xffff, s22
	s_mov_b32 s23, -1
	s_cmp_lt_i32 s22, 5
	s_cbranch_scc1 .LBB19_833
; %bb.813:
	s_cmp_lt_i32 s22, 8
	s_cbranch_scc1 .LBB19_823
; %bb.814:
	;; [unrolled: 3-line block ×3, first 2 shown]
	s_cmp_gt_i32 s22, 9
	s_cbranch_scc0 .LBB19_817
; %bb.816:
	v_cvt_f64_f32_e32 v[9:10], v1
	v_mov_b32_e32 v11, 0
	s_mov_b32 s23, 0
	v_mov_b32_e32 v12, v11
	global_store_dwordx4 v[3:4], v[9:12], off
.LBB19_817:
	s_andn2_b32 vcc_lo, exec_lo, s23
	s_cbranch_vccnz .LBB19_819
; %bb.818:
	v_mov_b32_e32 v2, 0
	global_store_dwordx2 v[3:4], v[1:2], off
.LBB19_819:
	s_mov_b32 s23, 0
.LBB19_820:
	s_andn2_b32 vcc_lo, exec_lo, s23
	s_cbranch_vccnz .LBB19_822
; %bb.821:
	v_cvt_f16_f32_e32 v0, v1
	v_and_b32_e32 v0, 0xffff, v0
	global_store_dword v[3:4], v0, off
.LBB19_822:
	s_mov_b32 s23, 0
.LBB19_823:
	s_andn2_b32 vcc_lo, exec_lo, s23
	s_cbranch_vccnz .LBB19_832
; %bb.824:
	s_cmp_lt_i32 s22, 6
	s_mov_b32 s23, -1
	s_cbranch_scc1 .LBB19_830
; %bb.825:
	s_cmp_gt_i32 s22, 6
	s_cbranch_scc0 .LBB19_827
; %bb.826:
	v_cvt_f64_f32_e32 v[5:6], v1
	s_mov_b32 s23, 0
	global_store_dwordx2 v[3:4], v[5:6], off
.LBB19_827:
	s_andn2_b32 vcc_lo, exec_lo, s23
	s_cbranch_vccnz .LBB19_829
; %bb.828:
	global_store_dword v[3:4], v1, off
.LBB19_829:
	s_mov_b32 s23, 0
.LBB19_830:
	s_andn2_b32 vcc_lo, exec_lo, s23
	s_cbranch_vccnz .LBB19_832
; %bb.831:
	v_cvt_f16_f32_e32 v0, v1
	global_store_short v[3:4], v0, off
.LBB19_832:
	s_mov_b32 s23, 0
.LBB19_833:
	s_andn2_b32 vcc_lo, exec_lo, s23
	s_cbranch_vccnz .LBB19_849
; %bb.834:
	s_cmp_lt_i32 s22, 2
	s_mov_b32 s23, -1
	s_cbranch_scc1 .LBB19_844
; %bb.835:
	s_cmp_lt_i32 s22, 3
	s_cbranch_scc1 .LBB19_841
; %bb.836:
	s_cmp_gt_i32 s22, 3
	s_cbranch_scc0 .LBB19_838
; %bb.837:
	v_trunc_f32_e32 v0, v1
	s_mov_b32 s23, 0
	v_mul_f32_e64 v2, 0x2f800000, |v0|
	v_floor_f32_e32 v2, v2
	v_fma_f32 v5, 0xcf800000, v2, |v0|
	v_ashrrev_i32_e32 v0, 31, v0
	v_cvt_u32_f32_e32 v2, v2
	v_cvt_u32_f32_e32 v5, v5
	v_xor_b32_e32 v2, v2, v0
	v_xor_b32_e32 v5, v5, v0
	v_sub_co_u32 v5, vcc_lo, v5, v0
	v_sub_co_ci_u32_e64 v6, null, v2, v0, vcc_lo
	global_store_dwordx2 v[3:4], v[5:6], off
.LBB19_838:
	s_andn2_b32 vcc_lo, exec_lo, s23
	s_cbranch_vccnz .LBB19_840
; %bb.839:
	v_cvt_i32_f32_e32 v0, v1
	global_store_dword v[3:4], v0, off
.LBB19_840:
	s_mov_b32 s23, 0
.LBB19_841:
	s_andn2_b32 vcc_lo, exec_lo, s23
	s_cbranch_vccnz .LBB19_843
; %bb.842:
	v_cvt_i32_f32_e32 v0, v1
	global_store_short v[3:4], v0, off
.LBB19_843:
	s_mov_b32 s23, 0
.LBB19_844:
	s_andn2_b32 vcc_lo, exec_lo, s23
	s_cbranch_vccnz .LBB19_849
; %bb.845:
	s_cmp_gt_i32 s22, 0
	s_mov_b32 s22, -1
	s_cbranch_scc0 .LBB19_847
; %bb.846:
	v_cvt_i32_f32_e32 v0, v1
	s_mov_b32 s22, 0
	global_store_byte v[3:4], v0, off
.LBB19_847:
	s_andn2_b32 vcc_lo, exec_lo, s22
	s_cbranch_vccnz .LBB19_849
; %bb.848:
	v_trunc_f32_e32 v0, v1
	v_mul_f32_e64 v1, 0x2f800000, |v0|
	v_floor_f32_e32 v1, v1
	v_fma_f32 v1, 0xcf800000, v1, |v0|
	v_ashrrev_i32_e32 v0, 31, v0
	v_cvt_u32_f32_e32 v1, v1
	v_xor_b32_e32 v1, v1, v0
	v_sub_nc_u32_e32 v0, v1, v0
	global_store_byte v[3:4], v0, off
.LBB19_849:
	s_mov_b32 s43, -1
.LBB19_850:
	s_andn2_b32 vcc_lo, exec_lo, s43
	s_cbranch_vccnz .LBB19_852
; %bb.851:
	v_add_nc_u32_e32 v8, 0x80, v8
	s_mov_b32 s43, -1
	s_branch .LBB19_854
.LBB19_852:
	s_mov_b32 s43, 0
.LBB19_853:
                                        ; implicit-def: $vgpr8
.LBB19_854:
	s_andn2_b32 s22, s40, exec_lo
	s_and_b32 s0, s0, exec_lo
	s_andn2_b32 s44, s39, exec_lo
	s_and_b32 s1, s1, exec_lo
	s_or_b32 s23, s22, s0
	s_or_b32 s22, s44, s1
	s_orn2_b32 s44, s43, exec_lo
.LBB19_855:
	s_or_b32 exec_lo, exec_lo, s42
	s_mov_b32 s0, 0
	s_mov_b32 s1, 0
	;; [unrolled: 1-line block ×3, first 2 shown]
                                        ; implicit-def: $vgpr1_vgpr2
                                        ; implicit-def: $vgpr0
                                        ; implicit-def: $vgpr5
	s_and_saveexec_b32 s42, s44
	s_cbranch_execz .LBB19_955
; %bb.856:
	v_cmp_gt_i32_e32 vcc_lo, s33, v8
	s_mov_b32 s45, s22
	s_mov_b32 s44, 0
                                        ; implicit-def: $vgpr1_vgpr2
                                        ; implicit-def: $vgpr0
                                        ; implicit-def: $vgpr5
	s_and_saveexec_b32 s33, vcc_lo
	s_cbranch_execz .LBB19_954
; %bb.857:
	s_andn2_b32 vcc_lo, exec_lo, s27
	s_cbranch_vccnz .LBB19_862
; %bb.858:
	s_andn2_b32 vcc_lo, exec_lo, s34
	s_cbranch_vccnz .LBB19_863
; %bb.859:
	s_add_i32 s35, s35, 1
	s_cmp_eq_u32 s25, 2
	s_cbranch_scc1 .LBB19_864
; %bb.860:
	v_mov_b32_e32 v2, 0
	v_mov_b32_e32 v0, 0
	;; [unrolled: 1-line block ×3, first 2 shown]
	s_and_b32 s34, s35, 28
	s_mov_b64 s[0:1], s[2:3]
.LBB19_861:                             ; =>This Inner Loop Header: Depth=1
	s_clause 0x1
	s_load_dwordx8 s[44:51], s[0:1], 0x4
	s_load_dwordx4 s[60:63], s[0:1], 0x24
	s_load_dwordx8 s[52:59], s[20:21], 0x0
	s_add_u32 s0, s0, 48
	s_addc_u32 s1, s1, 0
	s_add_i32 s43, s43, 4
	s_add_u32 s20, s20, 32
	s_addc_u32 s21, s21, 0
	s_cmp_eq_u32 s34, s43
	s_waitcnt vmcnt(0) lgkmcnt(0)
	v_mul_hi_u32 v3, s45, v1
	v_add_nc_u32_e32 v3, v1, v3
	v_lshrrev_b32_e32 v3, s46, v3
	v_mul_hi_u32 v4, s48, v3
	v_mul_lo_u32 v6, v3, s44
	v_add_nc_u32_e32 v4, v3, v4
	v_sub_nc_u32_e32 v1, v1, v6
	v_lshrrev_b32_e32 v4, s49, v4
	v_mul_lo_u32 v6, v1, s52
	v_mul_lo_u32 v9, v1, s53
	v_mul_hi_u32 v5, s51, v4
	v_add_nc_u32_e32 v5, v4, v5
	v_lshrrev_b32_e32 v5, s60, v5
	v_mul_hi_u32 v7, s62, v5
	v_mul_lo_u32 v10, v5, s50
	v_add_nc_u32_e32 v1, v5, v7
	v_mul_lo_u32 v7, v4, s47
	v_sub_nc_u32_e32 v4, v4, v10
	v_lshrrev_b32_e32 v1, s63, v1
	v_mul_lo_u32 v10, v4, s56
	v_mul_lo_u32 v4, v4, s57
	v_sub_nc_u32_e32 v3, v3, v7
	v_mul_lo_u32 v11, v1, s61
	v_mul_lo_u32 v7, v3, s54
	;; [unrolled: 1-line block ×3, first 2 shown]
	v_sub_nc_u32_e32 v5, v5, v11
	v_add3_u32 v0, v6, v0, v7
	v_mul_lo_u32 v11, v5, s58
	v_mul_lo_u32 v5, v5, s59
	v_add3_u32 v2, v9, v2, v3
	v_add3_u32 v0, v10, v0, v11
	;; [unrolled: 1-line block ×3, first 2 shown]
	s_cbranch_scc0 .LBB19_861
	s_branch .LBB19_865
.LBB19_862:
	s_mov_b32 s0, -1
                                        ; implicit-def: $vgpr0
                                        ; implicit-def: $vgpr2
	s_branch .LBB19_869
.LBB19_863:
	v_mov_b32_e32 v0, 0
	v_mov_b32_e32 v2, 0
	s_branch .LBB19_868
.LBB19_864:
	v_mov_b32_e32 v0, 0
	v_mov_b32_e32 v2, 0
	;; [unrolled: 1-line block ×3, first 2 shown]
	s_mov_b32 s34, 0
.LBB19_865:
	s_and_b32 s35, s35, 3
	s_cmp_eq_u32 s35, 0
	s_cbranch_scc1 .LBB19_868
; %bb.866:
	s_lshl_b32 s0, s34, 3
	s_mul_i32 s20, s34, 12
	s_add_u32 s0, s2, s0
	s_addc_u32 s1, s3, 0
	s_add_u32 s0, s0, 0xc4
	s_addc_u32 s1, s1, 0
	;; [unrolled: 2-line block ×3, first 2 shown]
.LBB19_867:                             ; =>This Inner Loop Header: Depth=1
	s_clause 0x1
	s_load_dwordx2 s[44:45], s[20:21], 0x4
	s_load_dword s34, s[20:21], 0xc
	s_load_dwordx2 s[46:47], s[0:1], 0x0
	s_add_u32 s20, s20, 12
	s_addc_u32 s21, s21, 0
	s_add_u32 s0, s0, 8
	s_addc_u32 s1, s1, 0
	s_add_i32 s35, s35, -1
	s_cmp_lg_u32 s35, 0
	s_waitcnt vmcnt(0) lgkmcnt(0)
	v_mul_hi_u32 v3, s45, v1
	v_add_nc_u32_e32 v3, v1, v3
	v_lshrrev_b32_e32 v4, s34, v3
	v_mul_lo_u32 v3, v4, s44
	v_sub_nc_u32_e32 v3, v1, v3
	v_mad_u64_u32 v[0:1], null, v3, s46, v[0:1]
	v_mad_u64_u32 v[2:3], null, v3, s47, v[2:3]
	v_mov_b32_e32 v1, v4
	s_cbranch_scc1 .LBB19_867
.LBB19_868:
	s_mov_b32 s0, 0
.LBB19_869:
	s_andn2_b32 vcc_lo, exec_lo, s0
	s_cbranch_vccnz .LBB19_872
; %bb.870:
	s_waitcnt lgkmcnt(0)
	v_mul_hi_u32 v0, s17, v8
	s_andn2_b32 vcc_lo, exec_lo, s31
	v_add_nc_u32_e32 v0, v8, v0
	v_lshrrev_b32_e32 v1, s18, v0
	v_mul_lo_u32 v0, v1, s16
	v_sub_nc_u32_e32 v2, v8, v0
	v_mul_lo_u32 v0, v2, s12
	v_mul_lo_u32 v2, v2, s13
	s_cbranch_vccnz .LBB19_872
; %bb.871:
	s_waitcnt vmcnt(0)
	v_mul_hi_u32 v3, s6, v1
	v_add_nc_u32_e32 v3, v1, v3
	v_lshrrev_b32_e32 v3, s7, v3
	v_mul_lo_u32 v3, v3, s19
	v_sub_nc_u32_e32 v3, v1, v3
	v_mad_u64_u32 v[0:1], null, v3, s14, v[0:1]
	v_mad_u64_u32 v[2:3], null, v3, s15, v[2:3]
.LBB19_872:
	s_waitcnt lgkmcnt(0)
	v_add_co_u32 v1, s0, s10, v2
	v_add_co_ci_u32_e64 v2, null, s11, 0, s0
	s_and_b32 s0, 0xffff, s30
	s_cmp_lt_i32 s0, 11
	s_cbranch_scc1 .LBB19_879
; %bb.873:
	s_cmp_gt_i32 s0, 25
	s_mov_b32 s6, 0
	s_cbranch_scc0 .LBB19_880
; %bb.874:
	s_cmp_gt_i32 s0, 28
	s_cbranch_scc0 .LBB19_881
; %bb.875:
	s_cmp_gt_i32 s0, 43
	;; [unrolled: 3-line block ×3, first 2 shown]
	s_cbranch_scc0 .LBB19_885
; %bb.877:
	s_cmp_eq_u32 s0, 46
	s_mov_b32 s10, 0
	s_cbranch_scc0 .LBB19_888
; %bb.878:
	global_load_dword v3, v[1:2], off
	s_mov_b32 s1, 0
	s_mov_b32 s7, -1
	s_waitcnt vmcnt(0)
	v_lshlrev_b32_e32 v5, 16, v3
	s_branch .LBB19_890
.LBB19_879:
	s_mov_b32 s0, -1
	s_mov_b32 s7, 0
	s_mov_b32 s6, 0
	;; [unrolled: 1-line block ×3, first 2 shown]
                                        ; implicit-def: $vgpr5
	s_branch .LBB19_953
.LBB19_880:
	s_mov_b32 s10, -1
	s_mov_b32 s7, 0
	s_mov_b32 s1, s22
                                        ; implicit-def: $vgpr5
	s_branch .LBB19_919
.LBB19_881:
	s_mov_b32 s10, -1
	s_mov_b32 s7, 0
	s_mov_b32 s1, s22
                                        ; implicit-def: $vgpr5
	s_branch .LBB19_900
.LBB19_882:
	s_mov_b32 s10, -1
	s_mov_b32 s7, 0
	s_mov_b32 s1, s22
                                        ; implicit-def: $vgpr5
	s_branch .LBB19_895
.LBB19_883:
	s_andn2_saveexec_b32 s45, s45
	s_cbranch_execz .LBB19_763
.LBB19_884:
	v_add_f32_e64 v0, 0x46000000, |v1|
	s_andn2_b32 s44, s44, exec_lo
	v_and_b32_e32 v0, 0xff, v0
	v_cmp_ne_u32_e32 vcc_lo, 0, v0
	s_and_b32 s46, vcc_lo, exec_lo
	s_or_b32 s44, s44, s46
	s_or_b32 exec_lo, exec_lo, s45
	v_mov_b32_e32 v2, 0
	s_and_saveexec_b32 s45, s44
	s_cbranch_execnz .LBB19_764
	s_branch .LBB19_765
.LBB19_885:
	s_mov_b32 s10, -1
	s_mov_b32 s7, 0
	s_mov_b32 s1, s22
	s_branch .LBB19_889
.LBB19_886:
	s_andn2_saveexec_b32 s45, s45
	s_cbranch_execz .LBB19_776
.LBB19_887:
	v_add_f32_e64 v0, 0x42800000, |v1|
	s_andn2_b32 s44, s44, exec_lo
	v_and_b32_e32 v0, 0xff, v0
	v_cmp_ne_u32_e32 vcc_lo, 0, v0
	s_and_b32 s46, vcc_lo, exec_lo
	s_or_b32 s44, s44, s46
	s_or_b32 exec_lo, exec_lo, s45
	v_mov_b32_e32 v2, 0
	s_and_saveexec_b32 s45, s44
	s_cbranch_execnz .LBB19_777
	s_branch .LBB19_778
.LBB19_888:
	s_mov_b32 s1, -1
	s_mov_b32 s7, 0
.LBB19_889:
                                        ; implicit-def: $vgpr5
.LBB19_890:
	s_and_b32 vcc_lo, exec_lo, s10
	s_cbranch_vccz .LBB19_894
; %bb.891:
	s_cmp_eq_u32 s0, 44
	s_cbranch_scc0 .LBB19_893
; %bb.892:
	global_load_ubyte v3, v[1:2], off
	s_mov_b32 s1, 0
	s_mov_b32 s7, -1
	s_waitcnt vmcnt(0)
	v_lshlrev_b32_e32 v4, 23, v3
	v_cmp_ne_u32_e32 vcc_lo, 0xff, v3
	v_cndmask_b32_e32 v4, 0x7f800001, v4, vcc_lo
	v_cmp_ne_u32_e32 vcc_lo, 0, v3
	v_cndmask_b32_e32 v5, 0x400000, v4, vcc_lo
	s_branch .LBB19_894
.LBB19_893:
	s_mov_b32 s1, -1
                                        ; implicit-def: $vgpr5
.LBB19_894:
	s_mov_b32 s10, 0
.LBB19_895:
	s_and_b32 vcc_lo, exec_lo, s10
	s_cbranch_vccz .LBB19_899
; %bb.896:
	s_cmp_eq_u32 s0, 29
	s_cbranch_scc0 .LBB19_898
; %bb.897:
	global_load_dwordx2 v[3:4], v[1:2], off
	s_mov_b32 s1, 0
	s_mov_b32 s7, -1
	s_mov_b32 s10, 0
	s_waitcnt vmcnt(0)
	v_ffbh_u32_e32 v5, v4
	v_min_u32_e32 v5, 32, v5
	v_lshlrev_b64 v[3:4], v5, v[3:4]
	v_min_u32_e32 v3, 1, v3
	v_or_b32_e32 v3, v4, v3
	v_sub_nc_u32_e32 v4, 32, v5
	v_cvt_f32_u32_e32 v3, v3
	v_ldexp_f32 v5, v3, v4
	s_branch .LBB19_900
.LBB19_898:
	s_mov_b32 s1, -1
                                        ; implicit-def: $vgpr5
.LBB19_899:
	s_mov_b32 s10, 0
.LBB19_900:
	s_and_b32 vcc_lo, exec_lo, s10
	s_cbranch_vccz .LBB19_918
; %bb.901:
	s_cmp_lt_i32 s0, 27
	s_cbranch_scc1 .LBB19_904
; %bb.902:
	s_cmp_gt_i32 s0, 27
	s_cbranch_scc0 .LBB19_905
; %bb.903:
	global_load_dword v3, v[1:2], off
	s_mov_b32 s7, 0
	s_waitcnt vmcnt(0)
	v_cvt_f32_u32_e32 v5, v3
	s_branch .LBB19_906
.LBB19_904:
	s_mov_b32 s7, -1
                                        ; implicit-def: $vgpr5
	s_branch .LBB19_909
.LBB19_905:
	s_mov_b32 s7, -1
                                        ; implicit-def: $vgpr5
.LBB19_906:
	s_andn2_b32 vcc_lo, exec_lo, s7
	s_cbranch_vccnz .LBB19_908
; %bb.907:
	global_load_ushort v3, v[1:2], off
	s_waitcnt vmcnt(0)
	v_cvt_f32_u32_e32 v5, v3
.LBB19_908:
	s_mov_b32 s7, 0
.LBB19_909:
	s_andn2_b32 vcc_lo, exec_lo, s7
	s_cbranch_vccnz .LBB19_917
; %bb.910:
	global_load_ubyte v3, v[1:2], off
	s_mov_b32 s7, 0
	s_mov_b32 s10, exec_lo
	s_waitcnt vmcnt(0)
	v_cmpx_lt_i16_e32 0x7f, v3
	s_xor_b32 s10, exec_lo, s10
	s_cbranch_execz .LBB19_931
; %bb.911:
	s_mov_b32 s7, -1
	s_mov_b32 s11, exec_lo
	v_cmpx_eq_u16_e32 0x80, v3
; %bb.912:
	s_xor_b32 s7, exec_lo, -1
; %bb.913:
	s_or_b32 exec_lo, exec_lo, s11
	s_and_b32 s7, s7, exec_lo
	s_or_saveexec_b32 s10, s10
	v_mov_b32_e32 v5, 0x7f800001
	s_xor_b32 exec_lo, exec_lo, s10
	s_cbranch_execnz .LBB19_932
.LBB19_914:
	s_or_b32 exec_lo, exec_lo, s10
	s_and_saveexec_b32 s10, s7
	s_cbranch_execz .LBB19_916
.LBB19_915:
	v_and_b32_e32 v4, 0xffff, v3
	v_lshlrev_b32_e32 v3, 24, v3
	v_and_b32_e32 v5, 7, v4
	v_bfe_u32 v8, v4, 3, 4
	v_and_b32_e32 v3, 0x80000000, v3
	v_ffbh_u32_e32 v6, v5
	v_cmp_eq_u32_e32 vcc_lo, 0, v8
	v_min_u32_e32 v6, 32, v6
	v_subrev_nc_u32_e32 v7, 28, v6
	v_sub_nc_u32_e32 v6, 29, v6
	v_lshlrev_b32_e32 v4, v7, v4
	v_cndmask_b32_e32 v6, v8, v6, vcc_lo
	v_and_b32_e32 v4, 7, v4
	v_cndmask_b32_e32 v4, v5, v4, vcc_lo
	v_lshl_add_u32 v5, v6, 23, 0x3b800000
	v_lshlrev_b32_e32 v4, 20, v4
	v_or3_b32 v5, v3, v5, v4
.LBB19_916:
	s_or_b32 exec_lo, exec_lo, s10
.LBB19_917:
	s_mov_b32 s7, -1
.LBB19_918:
	s_mov_b32 s10, 0
.LBB19_919:
	s_and_b32 vcc_lo, exec_lo, s10
	s_cbranch_vccz .LBB19_952
; %bb.920:
	s_cmp_gt_i32 s0, 22
	s_cbranch_scc0 .LBB19_930
; %bb.921:
	s_cmp_lt_i32 s0, 24
	s_cbranch_scc1 .LBB19_933
; %bb.922:
	s_cmp_gt_i32 s0, 24
	s_cbranch_scc0 .LBB19_934
; %bb.923:
	global_load_ubyte v3, v[1:2], off
	s_mov_b32 s7, exec_lo
	s_waitcnt vmcnt(0)
	v_cmpx_lt_i16_e32 0x7f, v3
	s_xor_b32 s7, exec_lo, s7
	s_cbranch_execz .LBB19_946
; %bb.924:
	s_mov_b32 s6, -1
	s_mov_b32 s10, exec_lo
	v_cmpx_eq_u16_e32 0x80, v3
; %bb.925:
	s_xor_b32 s6, exec_lo, -1
; %bb.926:
	s_or_b32 exec_lo, exec_lo, s10
	s_and_b32 s6, s6, exec_lo
	s_or_saveexec_b32 s7, s7
	v_mov_b32_e32 v5, 0x7f800001
	s_xor_b32 exec_lo, exec_lo, s7
	s_cbranch_execnz .LBB19_947
.LBB19_927:
	s_or_b32 exec_lo, exec_lo, s7
	s_and_saveexec_b32 s7, s6
	s_cbranch_execz .LBB19_929
.LBB19_928:
	v_and_b32_e32 v4, 0xffff, v3
	v_lshlrev_b32_e32 v3, 24, v3
	v_and_b32_e32 v5, 3, v4
	v_bfe_u32 v8, v4, 2, 5
	v_and_b32_e32 v3, 0x80000000, v3
	v_ffbh_u32_e32 v6, v5
	v_cmp_eq_u32_e32 vcc_lo, 0, v8
	v_min_u32_e32 v6, 32, v6
	v_subrev_nc_u32_e32 v7, 29, v6
	v_sub_nc_u32_e32 v6, 30, v6
	v_lshlrev_b32_e32 v4, v7, v4
	v_cndmask_b32_e32 v6, v8, v6, vcc_lo
	v_and_b32_e32 v4, 3, v4
	v_cndmask_b32_e32 v4, v5, v4, vcc_lo
	v_lshl_add_u32 v5, v6, 23, 0x37800000
	v_lshlrev_b32_e32 v4, 21, v4
	v_or3_b32 v5, v3, v5, v4
.LBB19_929:
	s_or_b32 exec_lo, exec_lo, s7
	s_mov_b32 s6, 0
	s_branch .LBB19_935
.LBB19_930:
	s_mov_b32 s6, -1
                                        ; implicit-def: $vgpr5
	s_branch .LBB19_941
.LBB19_931:
	s_or_saveexec_b32 s10, s10
	v_mov_b32_e32 v5, 0x7f800001
	s_xor_b32 exec_lo, exec_lo, s10
	s_cbranch_execz .LBB19_914
.LBB19_932:
	v_cmp_ne_u16_e32 vcc_lo, 0, v3
	v_mov_b32_e32 v5, 0
	s_andn2_b32 s7, s7, exec_lo
	s_and_b32 s11, vcc_lo, exec_lo
	s_or_b32 s7, s7, s11
	s_or_b32 exec_lo, exec_lo, s10
	s_and_saveexec_b32 s10, s7
	s_cbranch_execnz .LBB19_915
	s_branch .LBB19_916
.LBB19_933:
	s_mov_b32 s6, -1
                                        ; implicit-def: $vgpr5
	s_branch .LBB19_938
.LBB19_934:
	s_mov_b32 s6, -1
                                        ; implicit-def: $vgpr5
.LBB19_935:
	s_and_b32 vcc_lo, exec_lo, s6
	s_cbranch_vccz .LBB19_937
; %bb.936:
	global_load_ubyte v3, v[1:2], off
	s_waitcnt vmcnt(0)
	v_lshlrev_b32_e32 v3, 24, v3
	v_and_b32_e32 v4, 0x7f000000, v3
	v_ffbh_u32_e32 v5, v4
	v_add_nc_u32_e32 v7, 0x1000000, v4
	v_cmp_ne_u32_e32 vcc_lo, 0, v4
	v_min_u32_e32 v5, 32, v5
	v_sub_nc_u32_e64 v5, v5, 4 clamp
	v_lshlrev_b32_e32 v6, v5, v4
	v_lshlrev_b32_e32 v5, 23, v5
	v_lshrrev_b32_e32 v6, 4, v6
	v_sub_nc_u32_e32 v5, v6, v5
	v_ashrrev_i32_e32 v6, 8, v7
	v_add_nc_u32_e32 v5, 0x3c000000, v5
	v_and_or_b32 v5, 0x7f800000, v6, v5
	v_cndmask_b32_e32 v4, 0, v5, vcc_lo
	v_and_or_b32 v5, 0x80000000, v3, v4
.LBB19_937:
	s_mov_b32 s6, 0
.LBB19_938:
	s_andn2_b32 vcc_lo, exec_lo, s6
	s_cbranch_vccnz .LBB19_940
; %bb.939:
	global_load_ubyte v3, v[1:2], off
	s_waitcnt vmcnt(0)
	v_lshlrev_b32_e32 v4, 25, v3
	v_lshlrev_b16 v3, 8, v3
	v_lshrrev_b32_e32 v5, 4, v4
	v_and_or_b32 v6, 0x7f00, v3, 0.5
	v_cmp_gt_u32_e32 vcc_lo, 0x8000000, v4
	v_bfe_i32 v3, v3, 0, 16
	v_or_b32_e32 v5, 0x70000000, v5
	v_add_f32_e32 v6, -0.5, v6
	v_mul_f32_e32 v5, 0x7800000, v5
	v_cndmask_b32_e32 v4, v5, v6, vcc_lo
	v_and_or_b32 v5, 0x80000000, v3, v4
.LBB19_940:
	s_mov_b32 s6, 0
	s_mov_b32 s7, -1
.LBB19_941:
	s_andn2_b32 vcc_lo, exec_lo, s6
	s_mov_b32 s6, 0
	s_cbranch_vccnz .LBB19_952
; %bb.942:
	s_cmp_gt_i32 s0, 14
	s_cbranch_scc0 .LBB19_945
; %bb.943:
	s_cmp_eq_u32 s0, 15
	s_cbranch_scc0 .LBB19_948
; %bb.944:
	global_load_ushort v3, v[1:2], off
	s_mov_b32 s1, 0
	s_mov_b32 s7, -1
	s_waitcnt vmcnt(0)
	v_lshlrev_b32_e32 v5, 16, v3
	s_branch .LBB19_950
.LBB19_945:
	s_mov_b32 s6, -1
	s_branch .LBB19_949
.LBB19_946:
	s_or_saveexec_b32 s7, s7
	v_mov_b32_e32 v5, 0x7f800001
	s_xor_b32 exec_lo, exec_lo, s7
	s_cbranch_execz .LBB19_927
.LBB19_947:
	v_cmp_ne_u16_e32 vcc_lo, 0, v3
	v_mov_b32_e32 v5, 0
	s_andn2_b32 s6, s6, exec_lo
	s_and_b32 s10, vcc_lo, exec_lo
	s_or_b32 s6, s6, s10
	s_or_b32 exec_lo, exec_lo, s7
	s_and_saveexec_b32 s7, s6
	s_cbranch_execnz .LBB19_928
	s_branch .LBB19_929
.LBB19_948:
	s_mov_b32 s1, -1
.LBB19_949:
                                        ; implicit-def: $vgpr5
.LBB19_950:
	s_and_b32 vcc_lo, exec_lo, s6
	s_mov_b32 s6, 0
	s_cbranch_vccz .LBB19_952
; %bb.951:
	s_cmp_lg_u32 s0, 11
	s_mov_b32 s6, -1
	s_cselect_b32 s0, -1, 0
	s_andn2_b32 s1, s1, exec_lo
	s_and_b32 s0, s0, exec_lo
	s_or_b32 s1, s1, s0
.LBB19_952:
	s_mov_b32 s0, 0
.LBB19_953:
	s_and_b32 s43, s7, exec_lo
	s_andn2_b32 s7, s22, exec_lo
	s_and_b32 s1, s1, exec_lo
	s_and_b32 s44, s0, exec_lo
	;; [unrolled: 1-line block ×3, first 2 shown]
	s_or_b32 s45, s7, s1
.LBB19_954:
	s_or_b32 exec_lo, exec_lo, s33
	s_waitcnt lgkmcnt(0)
	s_andn2_b32 s6, s22, exec_lo
	s_and_b32 s7, s45, exec_lo
	s_and_b32 s43, s43, exec_lo
	;; [unrolled: 1-line block ×4, first 2 shown]
	s_or_b32 s22, s6, s7
.LBB19_955:
	s_or_b32 exec_lo, exec_lo, s42
	s_waitcnt lgkmcnt(0)
	s_andn2_b32 s6, s40, exec_lo
	s_and_b32 s7, s23, exec_lo
	s_and_b32 s42, s43, exec_lo
	s_or_b32 s40, s6, s7
	s_andn2_b32 s6, s39, exec_lo
	s_and_b32 s7, s22, exec_lo
	s_and_b32 s23, s1, exec_lo
	s_and_b32 s1, s0, exec_lo
	s_or_b32 s39, s6, s7
.LBB19_956:
	s_or_b32 exec_lo, exec_lo, s41
	s_andn2_b32 s0, s36, exec_lo
	s_waitcnt lgkmcnt(0)
	s_and_b32 s6, s40, exec_lo
	s_and_b32 s7, s39, exec_lo
	s_or_b32 s36, s0, s6
	s_andn2_b32 s6, s37, exec_lo
	s_and_b32 s0, s42, exec_lo
	s_and_b32 s22, s23, exec_lo
	;; [unrolled: 1-line block ×3, first 2 shown]
	s_or_b32 s37, s6, s7
	s_or_b32 exec_lo, exec_lo, s38
	s_mov_b32 s1, 0
	s_and_saveexec_b32 s6, s37
	s_cbranch_execz .LBB19_286
.LBB19_957:
	s_mov_b32 s1, exec_lo
	s_andn2_b32 s39, s39, exec_lo
	s_trap 2
	s_or_b32 exec_lo, exec_lo, s6
	s_and_saveexec_b32 s6, s39
	s_xor_b32 s6, exec_lo, s6
	s_cbranch_execnz .LBB19_287
.LBB19_958:
	s_or_b32 exec_lo, exec_lo, s6
	s_and_saveexec_b32 s6, s22
	s_cbranch_execz .LBB19_1004
.LBB19_959:
	s_sext_i32_i16 s7, s30
	s_cmp_lt_i32 s7, 5
	s_cbranch_scc1 .LBB19_964
; %bb.960:
	s_cmp_lt_i32 s7, 8
	s_cbranch_scc1 .LBB19_965
; %bb.961:
	;; [unrolled: 3-line block ×3, first 2 shown]
	s_cmp_gt_i32 s7, 9
	s_cbranch_scc0 .LBB19_967
; %bb.963:
	global_load_dwordx2 v[3:4], v[1:2], off
	s_mov_b32 s7, 0
	s_waitcnt vmcnt(0)
	v_cvt_f32_f64_e32 v5, v[3:4]
	s_branch .LBB19_968
.LBB19_964:
                                        ; implicit-def: $vgpr5
	s_branch .LBB19_985
.LBB19_965:
                                        ; implicit-def: $vgpr5
	s_branch .LBB19_974
.LBB19_966:
	s_mov_b32 s7, -1
                                        ; implicit-def: $vgpr5
	s_branch .LBB19_971
.LBB19_967:
	s_mov_b32 s7, -1
                                        ; implicit-def: $vgpr5
.LBB19_968:
	s_andn2_b32 vcc_lo, exec_lo, s7
	s_cbranch_vccnz .LBB19_970
; %bb.969:
	global_load_dword v5, v[1:2], off
.LBB19_970:
	s_mov_b32 s7, 0
.LBB19_971:
	s_andn2_b32 vcc_lo, exec_lo, s7
	s_cbranch_vccnz .LBB19_973
; %bb.972:
	global_load_dword v3, v[1:2], off
	s_waitcnt vmcnt(0)
	v_cvt_f32_f16_e32 v5, v3
.LBB19_973:
	s_cbranch_execnz .LBB19_984
.LBB19_974:
	s_sext_i32_i16 s7, s30
	s_cmp_lt_i32 s7, 6
	s_cbranch_scc1 .LBB19_977
; %bb.975:
	s_cmp_gt_i32 s7, 6
	s_cbranch_scc0 .LBB19_978
; %bb.976:
	global_load_dwordx2 v[3:4], v[1:2], off
	s_mov_b32 s7, 0
	s_waitcnt vmcnt(0)
	v_cvt_f32_f64_e32 v5, v[3:4]
	s_branch .LBB19_979
.LBB19_977:
	s_mov_b32 s7, -1
                                        ; implicit-def: $vgpr5
	s_branch .LBB19_982
.LBB19_978:
	s_mov_b32 s7, -1
                                        ; implicit-def: $vgpr5
.LBB19_979:
	s_andn2_b32 vcc_lo, exec_lo, s7
	s_cbranch_vccnz .LBB19_981
; %bb.980:
	global_load_dword v5, v[1:2], off
.LBB19_981:
	s_mov_b32 s7, 0
.LBB19_982:
	s_andn2_b32 vcc_lo, exec_lo, s7
	s_cbranch_vccnz .LBB19_984
; %bb.983:
	global_load_ushort v3, v[1:2], off
	s_waitcnt vmcnt(0)
	v_cvt_f32_f16_e32 v5, v3
.LBB19_984:
	s_cbranch_execnz .LBB19_1003
.LBB19_985:
	s_sext_i32_i16 s7, s30
	s_cmp_lt_i32 s7, 2
	s_cbranch_scc1 .LBB19_989
; %bb.986:
	s_cmp_lt_i32 s7, 3
	s_cbranch_scc1 .LBB19_990
; %bb.987:
	s_cmp_gt_i32 s7, 3
	s_cbranch_scc0 .LBB19_991
; %bb.988:
	global_load_dwordx2 v[3:4], v[1:2], off
	s_mov_b32 s7, 0
	s_waitcnt vmcnt(0)
	v_xor_b32_e32 v5, v3, v4
	v_ffbh_i32_e32 v6, v4
	v_ashrrev_i32_e32 v5, 31, v5
	v_add_nc_u32_e32 v6, -1, v6
	v_add_nc_u32_e32 v5, 32, v5
	v_min_u32_e32 v5, v6, v5
	v_lshlrev_b64 v[3:4], v5, v[3:4]
	v_min_u32_e32 v3, 1, v3
	v_or_b32_e32 v3, v4, v3
	v_sub_nc_u32_e32 v4, 32, v5
	v_cvt_f32_i32_e32 v3, v3
	v_ldexp_f32 v5, v3, v4
	s_branch .LBB19_992
.LBB19_989:
                                        ; implicit-def: $vgpr5
	s_branch .LBB19_998
.LBB19_990:
	s_mov_b32 s7, -1
                                        ; implicit-def: $vgpr5
	s_branch .LBB19_995
.LBB19_991:
	s_mov_b32 s7, -1
                                        ; implicit-def: $vgpr5
.LBB19_992:
	s_andn2_b32 vcc_lo, exec_lo, s7
	s_cbranch_vccnz .LBB19_994
; %bb.993:
	global_load_dword v3, v[1:2], off
	s_waitcnt vmcnt(0)
	v_cvt_f32_i32_e32 v5, v3
.LBB19_994:
	s_mov_b32 s7, 0
.LBB19_995:
	s_andn2_b32 vcc_lo, exec_lo, s7
	s_cbranch_vccnz .LBB19_997
; %bb.996:
	global_load_sshort v3, v[1:2], off
	s_waitcnt vmcnt(0)
	v_cvt_f32_i32_e32 v5, v3
.LBB19_997:
	s_cbranch_execnz .LBB19_1003
.LBB19_998:
	s_sext_i32_i16 s7, s30
	s_cmp_gt_i32 s7, 0
	s_mov_b32 s7, 0
	s_cbranch_scc0 .LBB19_1000
; %bb.999:
	global_load_sbyte v3, v[1:2], off
	s_waitcnt vmcnt(0)
	v_cvt_f32_i32_e32 v5, v3
	s_branch .LBB19_1001
.LBB19_1000:
	s_mov_b32 s7, -1
                                        ; implicit-def: $vgpr5
.LBB19_1001:
	s_andn2_b32 vcc_lo, exec_lo, s7
	s_cbranch_vccnz .LBB19_1003
; %bb.1002:
	global_load_ubyte v1, v[1:2], off
	s_waitcnt vmcnt(0)
	v_cvt_f32_ubyte0_e32 v5, v1
.LBB19_1003:
	s_or_b32 s0, s0, exec_lo
.LBB19_1004:
	s_or_b32 exec_lo, exec_lo, s6
	s_mov_b32 s11, 0
	s_mov_b32 s10, 0
                                        ; implicit-def: $sgpr7
                                        ; implicit-def: $vgpr3_vgpr4
                                        ; implicit-def: $vgpr1
	s_and_saveexec_b32 s6, s0
	s_cbranch_execz .LBB19_1024
; %bb.1005:
	s_waitcnt vmcnt(0)
	v_mul_f32_e64 v2, 0x3fb8aa3b, |v5|
	s_mov_b32 s7, exec_lo
                                        ; implicit-def: $vgpr1
	v_cmpx_ge_f32_e64 0x41000000, |v5|
	s_xor_b32 s7, exec_lo, s7
	s_cbranch_execz .LBB19_1011
; %bb.1006:
	v_fma_f32 v1, |v5|, 0.5, -2.0
	s_mov_b32 s0, 0x224cf950
	v_rndne_f32_e32 v6, v2
	v_fma_f32 v7, 0x3fb8aa3b, |v5|, -v2
	v_cmp_ngt_f32_e64 vcc_lo, 0xc2ce8ed0, |v5|
	v_fmaak_f32 v3, s0, v1, 0xa3c2be86
	v_cmp_nlt_f32_e64 s0, 0x42b17218, |v5|
	v_sub_f32_e32 v2, v2, v6
	v_fma_f32 v7, 0x32a5705f, |v5|, v7
	v_fmaak_f32 v4, v1, v3, 0xa24cf950
	v_add_f32_e32 v2, v2, v7
	v_add_f32_e32 v4, 0x25331f1f, v4
	v_exp_f32_e32 v2, v2
	v_fma_f32 v3, v1, v4, -v3
	v_add_f32_e32 v3, 0xa69f5554, v3
	v_fma_f32 v4, v1, v3, -v4
	v_add_f32_e32 v4, 0x2808ebf8, v4
	;; [unrolled: 2-line block ×25, first 2 shown]
	v_fma_f32 v1, v1, v3, -v4
	v_cvt_i32_f32_e32 v3, v6
	v_add_f32_e32 v1, 0x3e81531c, v1
	v_ldexp_f32 v2, v2, v3
	v_sub_f32_e32 v1, v1, v4
	v_cndmask_b32_e32 v3, 0, v2, vcc_lo
	v_mul_f32_e32 v1, 0.5, v1
	v_cndmask_b32_e64 v3, 0x7f800000, v3, s0
	s_mov_b32 s0, exec_lo
	v_mul_f32_e64 v2, |v5|, v1
                                        ; implicit-def: $vgpr1
	v_cmpx_ngt_f32_e32 0, v5
	s_xor_b32 s0, exec_lo, s0
; %bb.1007:
	v_mul_f32_e32 v1, v3, v2
                                        ; implicit-def: $vgpr3
                                        ; implicit-def: $vgpr2
; %bb.1008:
	s_andn2_saveexec_b32 s0, s0
; %bb.1009:
	v_mul_f32_e64 v1, v2, -v3
; %bb.1010:
	s_or_b32 exec_lo, exec_lo, s0
                                        ; implicit-def: $vgpr5
                                        ; implicit-def: $vgpr2
.LBB19_1011:
	s_andn2_saveexec_b32 s7, s7
	s_cbranch_execz .LBB19_1017
; %bb.1012:
	v_and_b32_e32 v1, 0x7fffffff, v5
	s_mov_b32 s0, 0x230aab6e
	v_div_scale_f32 v3, null, v1, v1, 0x42000000
	v_div_scale_f32 v1, vcc_lo, 0x42000000, v1, 0x42000000
	v_rcp_f32_e32 v4, v3
	v_fma_f32 v6, -v3, v4, 1.0
	v_fmac_f32_e32 v4, v6, v4
	v_mul_f32_e32 v6, v1, v4
	v_fma_f32 v7, -v3, v6, v1
	v_fmac_f32_e32 v6, v7, v4
	v_fma_f32 v7, 0x3fb8aa3b, |v5|, -v2
	v_fma_f32 v1, -v3, v6, v1
	v_fma_f32 v7, 0x32a5705f, |v5|, v7
	v_div_fmas_f32 v1, v1, v4, v6
	v_rndne_f32_e32 v6, v2
	v_cmp_ngt_f32_e64 vcc_lo, 0xc2ce8ed0, |v5|
	v_div_fixup_f32 v1, v1, |v5|, 0x42000000
	v_sub_f32_e32 v2, v2, v6
	v_cvt_i32_f32_e32 v6, v6
	v_add_f32_e32 v1, -2.0, v1
	v_add_f32_e32 v2, v2, v7
	v_fmaak_f32 v3, s0, v1, 0x22a2dc57
	v_exp_f32_e32 v2, v2
	v_cmp_nlt_f32_e64 s0, 0x42b17218, |v5|
	v_fmaak_f32 v4, v1, v3, 0xa30aab6e
	v_add_f32_e32 v4, 0xa456751e, v4
	v_ldexp_f32 v2, v2, v6
	v_fma_f32 v3, v1, v4, -v3
	v_cndmask_b32_e32 v2, 0, v2, vcc_lo
	v_add_f32_e32 v3, 0xa4140365, v3
	v_cndmask_b32_e64 v2, 0x7f800000, v2, s0
	s_mov_b32 s0, exec_lo
	v_fma_f32 v4, v1, v3, -v4
	v_add_f32_e32 v4, 0x25aac8b0, v4
	v_fma_f32 v3, v1, v4, -v3
	v_add_f32_e32 v3, 0x25beb473, v3
	v_fma_f32 v4, v1, v3, -v4
	v_add_f32_e32 v4, 0xa7077e6c, v4
	v_fma_f32 v3, v1, v4, -v3
	v_add_f32_e32 v3, 0xa7896da9, v3
	v_fma_f32 v4, v1, v3, -v4
	v_add_f32_e32 v4, 0x283bb70c, v4
	v_fma_f32 v3, v1, v4, -v3
	v_add_f32_e32 v3, 0x294069e1, v3
	v_fma_f32 v4, v1, v3, -v4
	v_add_f32_e32 v4, 0xa8bd4a41, v4
	v_fma_f32 v3, v1, v4, -v3
	v_add_f32_e32 v3, 0xaae5e22c, v3
	v_fma_f32 v4, v1, v3, -v4
	v_add_f32_e32 v4, 0xab4a9f08, v4
	v_fma_f32 v3, v1, v4, -v3
	v_add_f32_e32 v3, 0x2c0f3ea0, v3
	v_fma_f32 v4, v1, v3, -v4
	v_add_f32_e32 v4, 0x2d7880fb, v4
	v_fma_f32 v3, v1, v4, -v3
	v_add_f32_e32 v3, 0x2e0f0d10, v3
	v_fma_f32 v4, v1, v3, -v4
	v_add_f32_e32 v4, 0xada6e7cf, v4
	v_fma_f32 v3, v1, v4, -v3
	v_add_f32_e32 v3, 0xb019a653, v3
	v_fma_f32 v4, v1, v3, -v4
	v_add_f32_e32 v4, 0xb183c85d, v4
	v_fma_f32 v3, v1, v4, -v3
	v_add_f32_e32 v3, 0xb2e20a9d, v3
	v_fma_f32 v4, v1, v3, -v4
	v_add_f32_e32 v4, 0xb486dfe9, v4
	v_fma_f32 v3, v1, v4, -v3
	v_add_f32_e32 v3, 0xb68246fa, v3
	v_fma_f32 v4, v1, v3, -v4
	v_add_f32_e32 v4, 0xb8e7ebfc, v4
	v_fma_f32 v3, v1, v4, -v3
	v_add_f32_e32 v3, 0xbc1fed03, v3
	v_fma_f32 v1, v1, v3, -v4
	v_add_f32_e32 v1, 0x3f4750c6, v1
	v_sub_f32_e32 v3, v1, v4
                                        ; implicit-def: $vgpr1
	v_cmpx_ngt_f32_e32 0, v5
	s_xor_b32 s10, exec_lo, s0
	s_cbranch_execz .LBB19_1014
; %bb.1013:
	v_mul_f32_e64 v1, 0x4f800000, |v5|
	v_cmp_gt_f32_e64 vcc_lo, 0xf800000, |v5|
	v_mul_f32_e32 v3, 0.5, v3
	v_cndmask_b32_e64 v1, |v5|, v1, vcc_lo
	v_mul_f32_e32 v2, v2, v3
	v_sqrt_f32_e32 v4, v1
	v_add_nc_u32_e32 v5, -1, v4
	v_add_nc_u32_e32 v6, 1, v4
	v_fma_f32 v7, -v5, v4, v1
	v_fma_f32 v8, -v6, v4, v1
	v_cmp_ge_f32_e64 s0, 0, v7
	v_cndmask_b32_e64 v4, v4, v5, s0
	v_cmp_lt_f32_e64 s0, 0, v8
	v_cndmask_b32_e64 v4, v4, v6, s0
	v_mul_f32_e32 v5, 0x37800000, v4
	v_cndmask_b32_e32 v4, v4, v5, vcc_lo
	v_cmp_class_f32_e64 vcc_lo, v1, 0x260
	v_cndmask_b32_e32 v1, v4, v1, vcc_lo
	v_div_scale_f32 v3, null, v1, v1, v2
	v_rcp_f32_e32 v4, v3
	v_fma_f32 v5, -v3, v4, 1.0
	v_fmac_f32_e32 v4, v5, v4
	v_div_scale_f32 v5, vcc_lo, v2, v1, v2
	v_mul_f32_e32 v6, v5, v4
	v_fma_f32 v7, -v3, v6, v5
	v_fmac_f32_e32 v6, v7, v4
	v_fma_f32 v3, -v3, v6, v5
                                        ; implicit-def: $vgpr5
	v_div_fmas_f32 v3, v3, v4, v6
	v_div_fixup_f32 v1, v3, v1, v2
                                        ; implicit-def: $vgpr3
                                        ; implicit-def: $vgpr2
.LBB19_1014:
	s_andn2_saveexec_b32 s10, s10
	s_cbranch_execz .LBB19_1016
; %bb.1015:
	v_mul_f32_e64 v1, 0x4f800000, |v5|
	v_cmp_gt_f32_e64 vcc_lo, 0xf800000, |v5|
	v_mul_f32_e32 v3, -0.5, v3
	v_cndmask_b32_e64 v1, |v5|, v1, vcc_lo
	v_mul_f32_e32 v2, v2, v3
	v_sqrt_f32_e32 v4, v1
	v_add_nc_u32_e32 v5, -1, v4
	v_add_nc_u32_e32 v6, 1, v4
	v_fma_f32 v7, -v5, v4, v1
	v_fma_f32 v8, -v6, v4, v1
	v_cmp_ge_f32_e64 s0, 0, v7
	v_cndmask_b32_e64 v4, v4, v5, s0
	v_cmp_lt_f32_e64 s0, 0, v8
	v_cndmask_b32_e64 v4, v4, v6, s0
	v_mul_f32_e32 v5, 0x37800000, v4
	v_cndmask_b32_e32 v4, v4, v5, vcc_lo
	v_cmp_class_f32_e64 vcc_lo, v1, 0x260
	v_cndmask_b32_e32 v1, v4, v1, vcc_lo
	v_div_scale_f32 v3, null, v1, v1, v2
	v_rcp_f32_e32 v4, v3
	v_fma_f32 v5, -v3, v4, 1.0
	v_fmac_f32_e32 v4, v5, v4
	v_div_scale_f32 v5, vcc_lo, v2, v1, v2
	v_mul_f32_e32 v6, v5, v4
	v_fma_f32 v7, -v3, v6, v5
	v_fmac_f32_e32 v6, v7, v4
	v_fma_f32 v3, -v3, v6, v5
	v_div_fmas_f32 v3, v3, v4, v6
	v_div_fixup_f32 v1, v3, v1, v2
.LBB19_1016:
	s_or_b32 exec_lo, exec_lo, s10
.LBB19_1017:
	s_or_b32 exec_lo, exec_lo, s7
	v_add_co_u32 v3, s0, s8, v0
	v_add_co_ci_u32_e64 v4, null, s9, 0, s0
	s_and_b32 s7, s29, 0xff
	s_cmp_lt_i32 s7, 11
	s_cbranch_scc1 .LBB19_1027
; %bb.1018:
	s_and_b32 s8, 0xffff, s7
	s_mov_b32 s9, -1
	s_cmp_gt_i32 s8, 25
	s_mov_b32 s0, s36
	s_cbranch_scc0 .LBB19_1055
; %bb.1019:
	s_cmp_gt_i32 s8, 28
	s_mov_b32 s0, s36
	s_cbranch_scc0 .LBB19_1039
; %bb.1020:
	;; [unrolled: 4-line block ×4, first 2 shown]
	s_cmp_eq_u32 s8, 46
	s_mov_b32 s0, -1
	s_cbranch_scc0 .LBB19_1028
; %bb.1023:
	v_bfe_u32 v0, v1, 16, 1
	v_cmp_o_f32_e32 vcc_lo, v1, v1
	v_mov_b32_e32 v2, 0x7fc0
	s_mov_b32 s0, 0
	s_mov_b32 s9, 0
	v_add3_u32 v0, v1, v0, 0x7fff
	v_cndmask_b32_sdwa v0, v2, v0, vcc_lo dst_sel:DWORD dst_unused:UNUSED_PAD src0_sel:DWORD src1_sel:WORD_1
	global_store_dword v[3:4], v0, off
	s_branch .LBB19_1029
.LBB19_1024:
	s_or_b32 exec_lo, exec_lo, s6
	s_and_saveexec_b32 s0, s36
	s_cbranch_execnz .LBB19_1097
.LBB19_1025:
	s_or_b32 exec_lo, exec_lo, s0
	s_and_saveexec_b32 s0, s11
	s_xor_b32 s0, exec_lo, s0
	s_cbranch_execz .LBB19_1098
.LBB19_1026:
	v_cmp_neq_f32_e32 vcc_lo, 0, v1
	v_cndmask_b32_e64 v0, 0, 1, vcc_lo
	s_waitcnt vmcnt(0)
	global_store_byte v[3:4], v0, off
	s_or_b32 exec_lo, exec_lo, s0
	s_and_saveexec_b32 s0, s10
	s_xor_b32 s0, exec_lo, s0
	s_cbranch_execz .LBB19_1136
	s_branch .LBB19_1099
.LBB19_1027:
	s_mov_b32 s9, -1
	s_mov_b32 s0, s36
	s_branch .LBB19_1096
.LBB19_1028:
	s_mov_b32 s9, 0
.LBB19_1029:
	s_and_b32 vcc_lo, exec_lo, s9
	s_cbranch_vccz .LBB19_1034
; %bb.1030:
	s_cmp_eq_u32 s8, 44
	s_mov_b32 s0, -1
	s_cbranch_scc0 .LBB19_1034
; %bb.1031:
	v_bfe_u32 v2, v1, 23, 8
	v_mov_b32_e32 v0, 0xff
	s_mov_b32 s9, exec_lo
	v_cmpx_ne_u32_e32 0xff, v2
	s_cbranch_execz .LBB19_1033
; %bb.1032:
	v_and_b32_e32 v0, 0x400000, v1
	v_and_or_b32 v2, 0x3fffff, v1, v2
	v_cmp_ne_u32_e32 vcc_lo, 0, v0
	v_cmp_ne_u32_e64 s0, 0, v2
	v_lshrrev_b32_e32 v0, 23, v1
	s_and_b32 s0, vcc_lo, s0
	v_cndmask_b32_e64 v2, 0, 1, s0
	v_add_nc_u32_e32 v0, v0, v2
.LBB19_1033:
	s_or_b32 exec_lo, exec_lo, s9
	s_mov_b32 s0, 0
	global_store_byte v[3:4], v0, off
.LBB19_1034:
	s_mov_b32 s9, 0
.LBB19_1035:
	s_and_b32 vcc_lo, exec_lo, s9
	s_cbranch_vccz .LBB19_1038
; %bb.1036:
	s_cmp_eq_u32 s8, 29
	s_mov_b32 s0, -1
	s_cbranch_scc0 .LBB19_1038
; %bb.1037:
	v_trunc_f32_e32 v0, v1
	s_mov_b32 s0, 0
	s_mov_b32 s9, 0
	v_mul_f32_e32 v2, 0x2f800000, v0
	v_floor_f32_e32 v2, v2
	v_fmamk_f32 v0, v2, 0xcf800000, v0
	v_cvt_u32_f32_e32 v6, v2
	v_cvt_u32_f32_e32 v5, v0
	global_store_dwordx2 v[3:4], v[5:6], off
	s_branch .LBB19_1039
.LBB19_1038:
	s_mov_b32 s9, 0
.LBB19_1039:
	s_and_b32 vcc_lo, exec_lo, s9
	s_cbranch_vccz .LBB19_1054
; %bb.1040:
	s_cmp_lt_i32 s8, 27
	s_mov_b32 s9, -1
	s_cbranch_scc1 .LBB19_1046
; %bb.1041:
	s_cmp_gt_i32 s8, 27
	s_cbranch_scc0 .LBB19_1043
; %bb.1042:
	v_cvt_u32_f32_e32 v0, v1
	s_mov_b32 s9, 0
	global_store_dword v[3:4], v0, off
.LBB19_1043:
	s_andn2_b32 vcc_lo, exec_lo, s9
	s_cbranch_vccnz .LBB19_1045
; %bb.1044:
	v_cvt_u32_f32_e32 v0, v1
	global_store_short v[3:4], v0, off
.LBB19_1045:
	s_mov_b32 s9, 0
.LBB19_1046:
	s_andn2_b32 vcc_lo, exec_lo, s9
	s_cbranch_vccnz .LBB19_1054
; %bb.1047:
	v_and_b32_e32 v0, 0x7fffffff, v1
	v_mov_b32_e32 v2, 0x80
	s_mov_b32 s9, exec_lo
	v_cmpx_gt_u32_e32 0x43800000, v0
	s_cbranch_execz .LBB19_1053
; %bb.1048:
	v_cmp_lt_u32_e32 vcc_lo, 0x3bffffff, v0
	s_mov_b32 s10, 0
                                        ; implicit-def: $vgpr0
	s_and_saveexec_b32 s11, vcc_lo
	s_xor_b32 s11, exec_lo, s11
	s_cbranch_execz .LBB19_1207
; %bb.1049:
	v_bfe_u32 v0, v1, 20, 1
	s_mov_b32 s10, exec_lo
	v_add3_u32 v0, v1, v0, 0x487ffff
	v_lshrrev_b32_e32 v0, 20, v0
	s_andn2_saveexec_b32 s11, s11
	s_cbranch_execnz .LBB19_1208
.LBB19_1050:
	s_or_b32 exec_lo, exec_lo, s11
	v_mov_b32_e32 v2, 0
	s_and_saveexec_b32 s11, s10
.LBB19_1051:
	v_lshrrev_b32_e32 v2, 24, v1
	v_and_or_b32 v2, 0x80, v2, v0
.LBB19_1052:
	s_or_b32 exec_lo, exec_lo, s11
.LBB19_1053:
	s_or_b32 exec_lo, exec_lo, s9
	global_store_byte v[3:4], v2, off
.LBB19_1054:
	s_mov_b32 s9, 0
.LBB19_1055:
	s_and_b32 vcc_lo, exec_lo, s9
	s_mov_b32 s9, 0
	s_cbranch_vccz .LBB19_1095
; %bb.1056:
	s_cmp_gt_i32 s8, 22
	s_mov_b32 s10, -1
	s_cbranch_scc0 .LBB19_1088
; %bb.1057:
	s_cmp_lt_i32 s8, 24
	s_cbranch_scc1 .LBB19_1077
; %bb.1058:
	s_cmp_gt_i32 s8, 24
	s_cbranch_scc0 .LBB19_1066
; %bb.1059:
	v_and_b32_e32 v0, 0x7fffffff, v1
	v_mov_b32_e32 v2, 0x80
	s_mov_b32 s10, exec_lo
	v_cmpx_gt_u32_e32 0x47800000, v0
	s_cbranch_execz .LBB19_1065
; %bb.1060:
	v_cmp_lt_u32_e32 vcc_lo, 0x37ffffff, v0
	s_mov_b32 s11, 0
                                        ; implicit-def: $vgpr0
	s_and_saveexec_b32 s12, vcc_lo
	s_xor_b32 s12, exec_lo, s12
	s_cbranch_execz .LBB19_1345
; %bb.1061:
	v_bfe_u32 v0, v1, 21, 1
	s_mov_b32 s11, exec_lo
	v_add3_u32 v0, v1, v0, 0x88fffff
	v_lshrrev_b32_e32 v0, 21, v0
	s_andn2_saveexec_b32 s12, s12
	s_cbranch_execnz .LBB19_1346
.LBB19_1062:
	s_or_b32 exec_lo, exec_lo, s12
	v_mov_b32_e32 v2, 0
	s_and_saveexec_b32 s12, s11
.LBB19_1063:
	v_lshrrev_b32_e32 v2, 24, v1
	v_and_or_b32 v2, 0x80, v2, v0
.LBB19_1064:
	s_or_b32 exec_lo, exec_lo, s12
.LBB19_1065:
	s_or_b32 exec_lo, exec_lo, s10
	s_mov_b32 s10, 0
	global_store_byte v[3:4], v2, off
.LBB19_1066:
	s_and_b32 vcc_lo, exec_lo, s10
	s_cbranch_vccz .LBB19_1076
; %bb.1067:
	v_and_b32_e32 v2, 0x7fffffff, v1
	s_mov_b32 s10, exec_lo
                                        ; implicit-def: $vgpr0
	v_cmpx_gt_u32_e32 0x43f00000, v2
	s_xor_b32 s10, exec_lo, s10
	s_cbranch_execz .LBB19_1073
; %bb.1068:
	s_mov_b32 s11, exec_lo
                                        ; implicit-def: $vgpr0
	v_cmpx_lt_u32_e32 0x3c7fffff, v2
	s_xor_b32 s11, exec_lo, s11
; %bb.1069:
	v_bfe_u32 v0, v1, 20, 1
	v_add3_u32 v0, v1, v0, 0x407ffff
	v_and_b32_e32 v2, 0xff00000, v0
	v_lshrrev_b32_e32 v0, 20, v0
	v_cmp_ne_u32_e32 vcc_lo, 0x7f00000, v2
	v_cndmask_b32_e32 v0, 0x7e, v0, vcc_lo
; %bb.1070:
	s_andn2_saveexec_b32 s11, s11
; %bb.1071:
	v_add_f32_e64 v0, 0x46800000, |v1|
; %bb.1072:
	s_or_b32 exec_lo, exec_lo, s11
                                        ; implicit-def: $vgpr2
.LBB19_1073:
	s_andn2_saveexec_b32 s10, s10
; %bb.1074:
	v_mov_b32_e32 v0, 0x7f
	v_cmp_lt_u32_e32 vcc_lo, 0x7f800000, v2
	v_cndmask_b32_e32 v0, 0x7e, v0, vcc_lo
; %bb.1075:
	s_or_b32 exec_lo, exec_lo, s10
	v_lshrrev_b32_e32 v2, 24, v1
	v_and_or_b32 v0, 0x80, v2, v0
	global_store_byte v[3:4], v0, off
.LBB19_1076:
	s_mov_b32 s10, 0
.LBB19_1077:
	s_andn2_b32 vcc_lo, exec_lo, s10
	s_cbranch_vccnz .LBB19_1087
; %bb.1078:
	v_and_b32_e32 v2, 0x7fffffff, v1
	s_mov_b32 s10, exec_lo
                                        ; implicit-def: $vgpr0
	v_cmpx_gt_u32_e32 0x47800000, v2
	s_xor_b32 s10, exec_lo, s10
	s_cbranch_execz .LBB19_1084
; %bb.1079:
	s_mov_b32 s11, exec_lo
                                        ; implicit-def: $vgpr0
	v_cmpx_lt_u32_e32 0x387fffff, v2
	s_xor_b32 s11, exec_lo, s11
; %bb.1080:
	v_bfe_u32 v0, v1, 21, 1
	v_add3_u32 v0, v1, v0, 0x80fffff
	v_lshrrev_b32_e32 v0, 21, v0
; %bb.1081:
	s_andn2_saveexec_b32 s11, s11
; %bb.1082:
	v_add_f32_e64 v0, 0x43000000, |v1|
; %bb.1083:
	s_or_b32 exec_lo, exec_lo, s11
                                        ; implicit-def: $vgpr2
.LBB19_1084:
	s_andn2_saveexec_b32 s10, s10
; %bb.1085:
	v_mov_b32_e32 v0, 0x7f
	v_cmp_lt_u32_e32 vcc_lo, 0x7f800000, v2
	v_cndmask_b32_e32 v0, 0x7c, v0, vcc_lo
; %bb.1086:
	s_or_b32 exec_lo, exec_lo, s10
	v_lshrrev_b32_e32 v2, 24, v1
	v_and_or_b32 v0, 0x80, v2, v0
	global_store_byte v[3:4], v0, off
.LBB19_1087:
	s_mov_b32 s10, 0
.LBB19_1088:
	s_andn2_b32 vcc_lo, exec_lo, s10
	s_mov_b32 s11, 0
	s_cbranch_vccnz .LBB19_1096
; %bb.1089:
	s_cmp_gt_i32 s8, 14
	s_mov_b32 s10, -1
	s_cbranch_scc0 .LBB19_1093
; %bb.1090:
	s_cmp_eq_u32 s8, 15
	s_mov_b32 s0, -1
	s_cbranch_scc0 .LBB19_1092
; %bb.1091:
	v_bfe_u32 v0, v1, 16, 1
	v_cmp_o_f32_e32 vcc_lo, v1, v1
	v_mov_b32_e32 v2, 0x7fc0
	s_mov_b32 s0, 0
	v_add3_u32 v0, v1, v0, 0x7fff
	v_cndmask_b32_sdwa v0, v2, v0, vcc_lo dst_sel:DWORD dst_unused:UNUSED_PAD src0_sel:DWORD src1_sel:WORD_1
	global_store_short v[3:4], v0, off
.LBB19_1092:
	s_mov_b32 s10, 0
.LBB19_1093:
	s_and_b32 vcc_lo, exec_lo, s10
	s_cbranch_vccz .LBB19_1096
; %bb.1094:
	s_cmp_lg_u32 s8, 11
	s_mov_b32 s11, -1
	s_cselect_b32 s8, -1, 0
	s_andn2_b32 s0, s0, exec_lo
	s_and_b32 s8, s8, exec_lo
	s_or_b32 s0, s0, s8
	s_branch .LBB19_1096
.LBB19_1095:
	s_mov_b32 s11, 0
.LBB19_1096:
	s_andn2_b32 s8, s36, exec_lo
	s_and_b32 s0, s0, exec_lo
	s_and_b32 s10, s9, exec_lo
	;; [unrolled: 1-line block ×3, first 2 shown]
	s_or_b32 s36, s8, s0
	s_or_b32 exec_lo, exec_lo, s6
	s_and_saveexec_b32 s0, s36
	s_cbranch_execz .LBB19_1025
.LBB19_1097:
	s_or_b32 s1, s1, exec_lo
	s_andn2_b32 s11, s11, exec_lo
	s_trap 2
	s_or_b32 exec_lo, exec_lo, s0
	s_and_saveexec_b32 s0, s11
	s_xor_b32 s0, exec_lo, s0
	s_cbranch_execnz .LBB19_1026
.LBB19_1098:
	s_or_b32 exec_lo, exec_lo, s0
	s_and_saveexec_b32 s0, s10
	s_xor_b32 s0, exec_lo, s0
	s_cbranch_execz .LBB19_1136
.LBB19_1099:
	s_sext_i32_i16 s8, s7
	s_mov_b32 s6, -1
	s_cmp_lt_i32 s8, 5
	s_cbranch_scc1 .LBB19_1120
; %bb.1100:
	s_cmp_lt_i32 s8, 8
	s_cbranch_scc1 .LBB19_1110
; %bb.1101:
	;; [unrolled: 3-line block ×3, first 2 shown]
	s_cmp_gt_i32 s8, 9
	s_cbranch_scc0 .LBB19_1104
; %bb.1103:
	s_waitcnt vmcnt(0)
	v_cvt_f64_f32_e32 v[5:6], v1
	v_mov_b32_e32 v7, 0
	s_mov_b32 s6, 0
	v_mov_b32_e32 v8, v7
	global_store_dwordx4 v[3:4], v[5:8], off
.LBB19_1104:
	s_andn2_b32 vcc_lo, exec_lo, s6
	s_cbranch_vccnz .LBB19_1106
; %bb.1105:
	v_mov_b32_e32 v2, 0
	s_waitcnt vmcnt(0)
	global_store_dwordx2 v[3:4], v[1:2], off
.LBB19_1106:
	s_mov_b32 s6, 0
.LBB19_1107:
	s_andn2_b32 vcc_lo, exec_lo, s6
	s_cbranch_vccnz .LBB19_1109
; %bb.1108:
	v_cvt_f16_f32_e32 v0, v1
	v_and_b32_e32 v0, 0xffff, v0
	s_waitcnt vmcnt(0)
	global_store_dword v[3:4], v0, off
.LBB19_1109:
	s_mov_b32 s6, 0
.LBB19_1110:
	s_andn2_b32 vcc_lo, exec_lo, s6
	s_cbranch_vccnz .LBB19_1119
; %bb.1111:
	s_sext_i32_i16 s8, s7
	s_mov_b32 s6, -1
	s_cmp_lt_i32 s8, 6
	s_cbranch_scc1 .LBB19_1117
; %bb.1112:
	s_cmp_gt_i32 s8, 6
	s_cbranch_scc0 .LBB19_1114
; %bb.1113:
	s_waitcnt vmcnt(0)
	v_cvt_f64_f32_e32 v[5:6], v1
	s_mov_b32 s6, 0
	global_store_dwordx2 v[3:4], v[5:6], off
.LBB19_1114:
	s_andn2_b32 vcc_lo, exec_lo, s6
	s_cbranch_vccnz .LBB19_1116
; %bb.1115:
	s_waitcnt vmcnt(0)
	global_store_dword v[3:4], v1, off
.LBB19_1116:
	s_mov_b32 s6, 0
.LBB19_1117:
	s_andn2_b32 vcc_lo, exec_lo, s6
	s_cbranch_vccnz .LBB19_1119
; %bb.1118:
	v_cvt_f16_f32_e32 v0, v1
	s_waitcnt vmcnt(0)
	global_store_short v[3:4], v0, off
.LBB19_1119:
	s_mov_b32 s6, 0
.LBB19_1120:
	s_andn2_b32 vcc_lo, exec_lo, s6
	s_cbranch_vccnz .LBB19_1136
; %bb.1121:
	s_sext_i32_i16 s8, s7
	s_mov_b32 s6, -1
	s_cmp_lt_i32 s8, 2
	s_cbranch_scc1 .LBB19_1131
; %bb.1122:
	s_cmp_lt_i32 s8, 3
	s_cbranch_scc1 .LBB19_1128
; %bb.1123:
	s_cmp_gt_i32 s8, 3
	s_cbranch_scc0 .LBB19_1125
; %bb.1124:
	v_trunc_f32_e32 v0, v1
	s_mov_b32 s6, 0
	v_mul_f32_e64 v2, 0x2f800000, |v0|
	v_floor_f32_e32 v2, v2
	s_waitcnt vmcnt(0)
	v_fma_f32 v5, 0xcf800000, v2, |v0|
	v_ashrrev_i32_e32 v0, 31, v0
	v_cvt_u32_f32_e32 v2, v2
	v_cvt_u32_f32_e32 v5, v5
	v_xor_b32_e32 v2, v2, v0
	v_xor_b32_e32 v5, v5, v0
	v_sub_co_u32 v5, vcc_lo, v5, v0
	v_sub_co_ci_u32_e64 v6, null, v2, v0, vcc_lo
	global_store_dwordx2 v[3:4], v[5:6], off
.LBB19_1125:
	s_andn2_b32 vcc_lo, exec_lo, s6
	s_cbranch_vccnz .LBB19_1127
; %bb.1126:
	v_cvt_i32_f32_e32 v0, v1
	s_waitcnt vmcnt(0)
	global_store_dword v[3:4], v0, off
.LBB19_1127:
	s_mov_b32 s6, 0
.LBB19_1128:
	s_andn2_b32 vcc_lo, exec_lo, s6
	s_cbranch_vccnz .LBB19_1130
; %bb.1129:
	v_cvt_i32_f32_e32 v0, v1
	s_waitcnt vmcnt(0)
	global_store_short v[3:4], v0, off
.LBB19_1130:
	s_mov_b32 s6, 0
.LBB19_1131:
	s_andn2_b32 vcc_lo, exec_lo, s6
	s_cbranch_vccnz .LBB19_1136
; %bb.1132:
	s_sext_i32_i16 s6, s7
	s_cmp_gt_i32 s6, 0
	s_mov_b32 s6, -1
	s_cbranch_scc0 .LBB19_1134
; %bb.1133:
	v_cvt_i32_f32_e32 v0, v1
	s_mov_b32 s6, 0
	s_waitcnt vmcnt(0)
	global_store_byte v[3:4], v0, off
.LBB19_1134:
	s_andn2_b32 vcc_lo, exec_lo, s6
	s_cbranch_vccnz .LBB19_1136
; %bb.1135:
	v_trunc_f32_e32 v0, v1
	v_mul_f32_e64 v1, 0x2f800000, |v0|
	v_floor_f32_e32 v1, v1
	v_fma_f32 v1, 0xcf800000, v1, |v0|
	v_ashrrev_i32_e32 v0, 31, v0
	v_cvt_u32_f32_e32 v1, v1
	v_xor_b32_e32 v1, v1, v0
	v_sub_nc_u32_e32 v0, v1, v0
	s_waitcnt vmcnt(0)
	global_store_byte v[3:4], v0, off
.LBB19_1136:
	s_or_b32 exec_lo, exec_lo, s0
	s_and_b32 s12, s1, exec_lo
                                        ; implicit-def: $vgpr15
                                        ; implicit-def: $vgpr8
.LBB19_1137:
	s_or_saveexec_b32 s13, s28
	s_mov_b32 s0, 0
                                        ; implicit-def: $vgpr0_vgpr1
                                        ; implicit-def: $sgpr6
                                        ; implicit-def: $vgpr7
	s_xor_b32 exec_lo, exec_lo, s13
	s_cbranch_execz .LBB19_1838
; %bb.1138:
	v_cndmask_b32_e64 v0, 0, 1, s27
	s_andn2_b32 vcc_lo, exec_lo, s27
	s_cbranch_vccnz .LBB19_1144
; %bb.1139:
	s_cmp_lg_u32 s24, 0
	s_mov_b32 s8, 0
	s_cbranch_scc0 .LBB19_1145
; %bb.1140:
	s_min_u32 s10, s25, 15
	s_add_i32 s10, s10, 1
	s_cmp_eq_u32 s25, 2
	s_cbranch_scc1 .LBB19_1146
; %bb.1141:
	v_mov_b32_e32 v13, 0
	v_mov_b32_e32 v6, 0
	;; [unrolled: 1-line block ×3, first 2 shown]
	s_and_b32 s9, s10, 28
	s_add_u32 s0, s2, 0xc4
	s_addc_u32 s1, s3, 0
	s_mov_b32 s11, 0
	s_mov_b64 s[6:7], s[2:3]
.LBB19_1142:                            ; =>This Inner Loop Header: Depth=1
	s_clause 0x1
	s_load_dwordx8 s[16:23], s[6:7], 0x4
	s_load_dwordx4 s[28:31], s[6:7], 0x24
	s_load_dwordx8 s[36:43], s[0:1], 0x0
	s_add_u32 s6, s6, 48
	s_addc_u32 s7, s7, 0
	s_add_i32 s11, s11, 4
	s_add_u32 s0, s0, 32
	s_addc_u32 s1, s1, 0
	s_cmp_lg_u32 s9, s11
	s_waitcnt lgkmcnt(0)
	v_mul_hi_u32 v2, s17, v1
	v_add_nc_u32_e32 v2, v1, v2
	v_lshrrev_b32_e32 v2, s18, v2
	s_waitcnt vmcnt(0)
	v_mul_hi_u32 v3, s20, v2
	v_mul_lo_u32 v5, v2, s16
	v_add_nc_u32_e32 v3, v2, v3
	v_sub_nc_u32_e32 v1, v1, v5
	v_lshrrev_b32_e32 v3, s21, v3
	v_mul_lo_u32 v5, v1, s36
	v_mul_lo_u32 v9, v1, s37
	v_mul_hi_u32 v4, s23, v3
	v_add_nc_u32_e32 v4, v3, v4
	v_lshrrev_b32_e32 v4, s28, v4
	v_mul_hi_u32 v7, s30, v4
	v_mul_lo_u32 v10, v4, s22
	v_add_nc_u32_e32 v1, v4, v7
	v_mul_lo_u32 v7, v3, s19
	v_sub_nc_u32_e32 v3, v3, v10
	v_lshrrev_b32_e32 v1, s31, v1
	v_mul_lo_u32 v10, v3, s40
	v_mul_lo_u32 v3, v3, s41
	v_sub_nc_u32_e32 v2, v2, v7
	v_mul_lo_u32 v11, v1, s29
	v_mul_lo_u32 v7, v2, s38
	;; [unrolled: 1-line block ×3, first 2 shown]
	v_sub_nc_u32_e32 v4, v4, v11
	v_add3_u32 v5, v5, v6, v7
	v_mul_lo_u32 v11, v4, s42
	v_mul_lo_u32 v4, v4, s43
	v_add3_u32 v2, v9, v13, v2
	v_add3_u32 v6, v10, v5, v11
	;; [unrolled: 1-line block ×3, first 2 shown]
	s_cbranch_scc1 .LBB19_1142
; %bb.1143:
	s_and_b32 s10, s10, 3
	s_cmp_eq_u32 s10, 0
	s_cbranch_scc0 .LBB19_1147
	s_branch .LBB19_1149
.LBB19_1144:
	s_mov_b32 s8, -1
                                        ; implicit-def: $vgpr6
                                        ; implicit-def: $vgpr13
	s_branch .LBB19_1149
.LBB19_1145:
	v_mov_b32_e32 v6, 0
	v_mov_b32_e32 v13, 0
	s_branch .LBB19_1149
.LBB19_1146:
	v_mov_b32_e32 v6, 0
	v_mov_b32_e32 v13, 0
	;; [unrolled: 1-line block ×3, first 2 shown]
	s_mov_b32 s9, 0
	s_and_b32 s10, s10, 3
	s_cmp_eq_u32 s10, 0
	s_cbranch_scc1 .LBB19_1149
.LBB19_1147:
	s_lshl_b32 s0, s9, 3
	s_mul_i32 s6, s9, 12
	s_add_u32 s0, s2, s0
	s_addc_u32 s1, s3, 0
	s_add_u32 s0, s0, 0xc4
	s_addc_u32 s1, s1, 0
	;; [unrolled: 2-line block ×3, first 2 shown]
	.p2align	6
.LBB19_1148:                            ; =>This Inner Loop Header: Depth=1
	s_clause 0x1
	s_load_dwordx2 s[14:15], s[6:7], 0x4
	s_load_dword s9, s[6:7], 0xc
	s_load_dwordx2 s[16:17], s[0:1], 0x0
	s_add_u32 s6, s6, 12
	s_addc_u32 s7, s7, 0
	s_add_u32 s0, s0, 8
	s_addc_u32 s1, s1, 0
	s_add_i32 s10, s10, -1
	s_cmp_lg_u32 s10, 0
	s_waitcnt lgkmcnt(0)
	v_mul_hi_u32 v2, s15, v1
	v_add_nc_u32_e32 v2, v1, v2
	v_lshrrev_b32_e32 v2, s9, v2
	s_waitcnt vmcnt(0)
	v_mul_lo_u32 v3, v2, s14
	v_sub_nc_u32_e32 v1, v1, v3
	v_mad_u64_u32 v[6:7], null, v1, s16, v[6:7]
	v_mad_u64_u32 v[13:14], null, v1, s17, v[13:14]
	v_mov_b32_e32 v1, v2
	s_cbranch_scc1 .LBB19_1148
.LBB19_1149:
	s_andn2_b32 vcc_lo, exec_lo, s8
	s_cbranch_vccnz .LBB19_1152
; %bb.1150:
	s_clause 0x1
	s_load_dwordx4 s[8:11], s[2:3], 0x4
	s_load_dwordx2 s[0:1], s[2:3], 0xc4
	s_cmp_lt_u32 s24, 2
	s_waitcnt lgkmcnt(0)
	v_mul_hi_u32 v1, s9, v8
	v_add_nc_u32_e32 v1, v8, v1
	v_lshrrev_b32_e32 v1, s10, v1
	v_mul_lo_u32 v2, v1, s8
	v_sub_nc_u32_e32 v2, v8, v2
	v_mul_lo_u32 v6, v2, s0
	v_mul_lo_u32 v13, v2, s1
	s_cbranch_scc1 .LBB19_1152
; %bb.1151:
	s_clause 0x1
	s_load_dwordx4 s[8:11], s[2:3], 0x10
	s_load_dwordx2 s[0:1], s[2:3], 0xcc
	s_waitcnt lgkmcnt(0)
	v_mul_hi_u32 v2, s9, v1
	v_add_nc_u32_e32 v2, v1, v2
	v_lshrrev_b32_e32 v2, s10, v2
	v_mul_lo_u32 v2, v2, s8
	v_sub_nc_u32_e32 v1, v1, v2
	v_mad_u64_u32 v[6:7], null, v1, s0, v[6:7]
	v_mad_u64_u32 v[13:14], null, v1, s1, v[13:14]
.LBB19_1152:
	v_cmp_ne_u32_e32 vcc_lo, 1, v0
	v_add_nc_u32_e32 v1, 0x80, v8
	s_cbranch_vccnz .LBB19_1158
; %bb.1153:
	s_cmp_lg_u32 s24, 0
	s_mov_b32 s8, 0
	s_cbranch_scc0 .LBB19_1159
; %bb.1154:
	s_min_u32 s10, s25, 15
	s_add_i32 s10, s10, 1
	s_cmp_eq_u32 s25, 2
	s_cbranch_scc1 .LBB19_1160
; %bb.1155:
	v_mov_b32_e32 v11, 0
	v_mov_b32_e32 v4, 0
	v_mov_b32_e32 v2, v1
	s_and_b32 s9, s10, 28
	s_add_u32 s0, s2, 0xc4
	s_addc_u32 s1, s3, 0
	s_mov_b32 s11, 0
	s_mov_b64 s[6:7], s[2:3]
.LBB19_1156:                            ; =>This Inner Loop Header: Depth=1
	s_clause 0x1
	s_load_dwordx8 s[16:23], s[6:7], 0x4
	s_load_dwordx4 s[28:31], s[6:7], 0x24
	s_load_dwordx8 s[36:43], s[0:1], 0x0
	s_add_u32 s6, s6, 48
	s_addc_u32 s7, s7, 0
	s_add_i32 s11, s11, 4
	s_add_u32 s0, s0, 32
	s_addc_u32 s1, s1, 0
	s_cmp_lg_u32 s9, s11
	s_waitcnt vmcnt(0) lgkmcnt(0)
	v_mul_hi_u32 v3, s17, v2
	v_add_nc_u32_e32 v3, v2, v3
	v_lshrrev_b32_e32 v3, s18, v3
	v_mul_hi_u32 v5, s20, v3
	v_mul_lo_u32 v9, v3, s16
	v_add_nc_u32_e32 v5, v3, v5
	v_sub_nc_u32_e32 v2, v2, v9
	v_lshrrev_b32_e32 v5, s21, v5
	v_mul_lo_u32 v9, v2, s36
	v_mul_lo_u32 v12, v2, s37
	v_mul_hi_u32 v7, s23, v5
	v_add_nc_u32_e32 v7, v5, v7
	v_lshrrev_b32_e32 v7, s28, v7
	v_mul_hi_u32 v10, s30, v7
	v_mul_lo_u32 v14, v7, s22
	v_add_nc_u32_e32 v2, v7, v10
	v_mul_lo_u32 v10, v5, s19
	v_sub_nc_u32_e32 v5, v5, v14
	v_lshrrev_b32_e32 v2, s31, v2
	v_mul_lo_u32 v14, v5, s40
	v_mul_lo_u32 v5, v5, s41
	v_sub_nc_u32_e32 v3, v3, v10
	v_mul_lo_u32 v16, v2, s29
	v_mul_lo_u32 v10, v3, s38
	;; [unrolled: 1-line block ×3, first 2 shown]
	v_sub_nc_u32_e32 v7, v7, v16
	v_add3_u32 v4, v9, v4, v10
	v_mul_lo_u32 v16, v7, s42
	v_mul_lo_u32 v7, v7, s43
	v_add3_u32 v3, v12, v11, v3
	v_add3_u32 v4, v14, v4, v16
	;; [unrolled: 1-line block ×3, first 2 shown]
	s_cbranch_scc1 .LBB19_1156
; %bb.1157:
	s_and_b32 s10, s10, 3
	s_cmp_eq_u32 s10, 0
	s_cbranch_scc0 .LBB19_1161
	s_branch .LBB19_1163
.LBB19_1158:
	s_mov_b32 s8, -1
                                        ; implicit-def: $vgpr4
                                        ; implicit-def: $vgpr11
	s_branch .LBB19_1163
.LBB19_1159:
	v_mov_b32_e32 v4, 0
	v_mov_b32_e32 v11, 0
	s_branch .LBB19_1163
.LBB19_1160:
	v_mov_b32_e32 v4, 0
	v_mov_b32_e32 v11, 0
	;; [unrolled: 1-line block ×3, first 2 shown]
	s_mov_b32 s9, 0
	s_and_b32 s10, s10, 3
	s_cmp_eq_u32 s10, 0
	s_cbranch_scc1 .LBB19_1163
.LBB19_1161:
	s_lshl_b32 s0, s9, 3
	s_mul_i32 s6, s9, 12
	s_add_u32 s0, s2, s0
	s_addc_u32 s1, s3, 0
	s_add_u32 s0, s0, 0xc4
	s_addc_u32 s1, s1, 0
	;; [unrolled: 2-line block ×3, first 2 shown]
	.p2align	6
.LBB19_1162:                            ; =>This Inner Loop Header: Depth=1
	s_clause 0x1
	s_load_dwordx2 s[14:15], s[6:7], 0x4
	s_load_dword s9, s[6:7], 0xc
	s_load_dwordx2 s[16:17], s[0:1], 0x0
	s_add_u32 s6, s6, 12
	s_addc_u32 s7, s7, 0
	s_add_u32 s0, s0, 8
	s_addc_u32 s1, s1, 0
	s_add_i32 s10, s10, -1
	s_cmp_lg_u32 s10, 0
	s_waitcnt vmcnt(0) lgkmcnt(0)
	v_mul_hi_u32 v3, s15, v2
	v_add_nc_u32_e32 v3, v2, v3
	v_lshrrev_b32_e32 v3, s9, v3
	v_mul_lo_u32 v5, v3, s14
	v_sub_nc_u32_e32 v2, v2, v5
	v_mad_u64_u32 v[4:5], null, v2, s16, v[4:5]
	v_mad_u64_u32 v[11:12], null, v2, s17, v[11:12]
	v_mov_b32_e32 v2, v3
	s_cbranch_scc1 .LBB19_1162
.LBB19_1163:
	s_andn2_b32 vcc_lo, exec_lo, s8
	s_cbranch_vccnz .LBB19_1166
; %bb.1164:
	s_clause 0x1
	s_load_dwordx4 s[8:11], s[2:3], 0x4
	s_load_dwordx2 s[0:1], s[2:3], 0xc4
	s_cmp_lt_u32 s24, 2
	s_waitcnt lgkmcnt(0)
	v_mul_hi_u32 v2, s9, v1
	v_add_nc_u32_e32 v2, v1, v2
	v_lshrrev_b32_e32 v2, s10, v2
	s_waitcnt vmcnt(0)
	v_mul_lo_u32 v3, v2, s8
	v_sub_nc_u32_e32 v1, v1, v3
	v_mul_lo_u32 v4, v1, s0
	v_mul_lo_u32 v11, v1, s1
	s_cbranch_scc1 .LBB19_1166
; %bb.1165:
	s_clause 0x1
	s_load_dwordx4 s[8:11], s[2:3], 0x10
	s_load_dwordx2 s[0:1], s[2:3], 0xcc
	s_waitcnt lgkmcnt(0)
	v_mul_hi_u32 v1, s9, v2
	v_add_nc_u32_e32 v1, v2, v1
	v_lshrrev_b32_e32 v1, s10, v1
	v_mul_lo_u32 v1, v1, s8
	v_sub_nc_u32_e32 v1, v2, v1
	v_mad_u64_u32 v[4:5], null, v1, s0, v[4:5]
	v_mad_u64_u32 v[11:12], null, v1, s1, v[11:12]
.LBB19_1166:
	v_cmp_ne_u32_e32 vcc_lo, 1, v0
	v_add_nc_u32_e32 v1, 0x100, v8
	s_cbranch_vccnz .LBB19_1172
; %bb.1167:
	s_cmp_lg_u32 s24, 0
	s_mov_b32 s8, 0
	s_cbranch_scc0 .LBB19_1173
; %bb.1168:
	s_min_u32 s10, s25, 15
	s_add_i32 s10, s10, 1
	s_cmp_eq_u32 s25, 2
	s_cbranch_scc1 .LBB19_1174
; %bb.1169:
	v_mov_b32_e32 v9, 0
	v_mov_b32_e32 v2, 0
	s_waitcnt vmcnt(0)
	v_mov_b32_e32 v3, v1
	s_and_b32 s9, s10, 28
	s_add_u32 s0, s2, 0xc4
	s_addc_u32 s1, s3, 0
	s_mov_b32 s11, 0
	s_mov_b64 s[6:7], s[2:3]
.LBB19_1170:                            ; =>This Inner Loop Header: Depth=1
	s_clause 0x1
	s_load_dwordx8 s[16:23], s[6:7], 0x4
	s_load_dwordx4 s[28:31], s[6:7], 0x24
	s_load_dwordx8 s[36:43], s[0:1], 0x0
	s_add_u32 s6, s6, 48
	s_addc_u32 s7, s7, 0
	s_add_i32 s11, s11, 4
	s_add_u32 s0, s0, 32
	s_addc_u32 s1, s1, 0
	s_cmp_lg_u32 s9, s11
	s_waitcnt lgkmcnt(0)
	v_mul_hi_u32 v5, s17, v3
	v_add_nc_u32_e32 v5, v3, v5
	v_lshrrev_b32_e32 v5, s18, v5
	v_mul_hi_u32 v7, s20, v5
	v_mul_lo_u32 v10, v5, s16
	v_add_nc_u32_e32 v7, v5, v7
	v_sub_nc_u32_e32 v3, v3, v10
	v_lshrrev_b32_e32 v7, s21, v7
	v_mul_lo_u32 v10, v3, s36
	v_mul_lo_u32 v14, v3, s37
	v_mul_hi_u32 v8, s23, v7
	v_add_nc_u32_e32 v8, v7, v8
	v_lshrrev_b32_e32 v8, s28, v8
	v_mul_hi_u32 v12, s30, v8
	v_mul_lo_u32 v16, v8, s22
	v_add_nc_u32_e32 v3, v8, v12
	v_mul_lo_u32 v12, v7, s19
	v_sub_nc_u32_e32 v7, v7, v16
	v_lshrrev_b32_e32 v3, s31, v3
	v_mul_lo_u32 v16, v7, s40
	v_mul_lo_u32 v7, v7, s41
	v_sub_nc_u32_e32 v5, v5, v12
	v_mul_lo_u32 v17, v3, s29
	v_mul_lo_u32 v12, v5, s38
	;; [unrolled: 1-line block ×3, first 2 shown]
	v_sub_nc_u32_e32 v8, v8, v17
	v_add3_u32 v2, v10, v2, v12
	v_mul_lo_u32 v17, v8, s42
	v_mul_lo_u32 v8, v8, s43
	v_add3_u32 v5, v14, v9, v5
	v_add3_u32 v2, v16, v2, v17
	;; [unrolled: 1-line block ×3, first 2 shown]
	s_cbranch_scc1 .LBB19_1170
; %bb.1171:
	s_and_b32 s10, s10, 3
	s_cmp_eq_u32 s10, 0
	s_cbranch_scc0 .LBB19_1175
	s_branch .LBB19_1177
.LBB19_1172:
	s_mov_b32 s8, -1
                                        ; implicit-def: $vgpr2
                                        ; implicit-def: $vgpr9
	s_branch .LBB19_1177
.LBB19_1173:
	v_mov_b32_e32 v2, 0
	v_mov_b32_e32 v9, 0
	s_branch .LBB19_1177
.LBB19_1174:
	v_mov_b32_e32 v2, 0
	v_mov_b32_e32 v9, 0
	s_waitcnt vmcnt(0)
	v_mov_b32_e32 v3, v1
	s_mov_b32 s9, 0
	s_and_b32 s10, s10, 3
	s_cmp_eq_u32 s10, 0
	s_cbranch_scc1 .LBB19_1177
.LBB19_1175:
	s_lshl_b32 s0, s9, 3
	s_mul_i32 s6, s9, 12
	s_add_u32 s0, s2, s0
	s_addc_u32 s1, s3, 0
	s_add_u32 s0, s0, 0xc4
	s_addc_u32 s1, s1, 0
	;; [unrolled: 2-line block ×3, first 2 shown]
	.p2align	6
.LBB19_1176:                            ; =>This Inner Loop Header: Depth=1
	s_clause 0x1
	s_load_dwordx2 s[14:15], s[6:7], 0x4
	s_load_dword s9, s[6:7], 0xc
	s_load_dwordx2 s[16:17], s[0:1], 0x0
	s_add_u32 s6, s6, 12
	s_addc_u32 s7, s7, 0
	s_add_u32 s0, s0, 8
	s_addc_u32 s1, s1, 0
	s_add_i32 s10, s10, -1
	s_cmp_lg_u32 s10, 0
	s_waitcnt lgkmcnt(0)
	v_mul_hi_u32 v5, s15, v3
	v_add_nc_u32_e32 v5, v3, v5
	v_lshrrev_b32_e32 v5, s9, v5
	v_mul_lo_u32 v7, v5, s14
	v_sub_nc_u32_e32 v7, v3, v7
	v_mad_u64_u32 v[2:3], null, v7, s16, v[2:3]
	v_mad_u64_u32 v[9:10], null, v7, s17, v[9:10]
	v_mov_b32_e32 v3, v5
	s_cbranch_scc1 .LBB19_1176
.LBB19_1177:
	s_andn2_b32 vcc_lo, exec_lo, s8
	s_cbranch_vccnz .LBB19_1180
; %bb.1178:
	s_clause 0x1
	s_load_dwordx4 s[8:11], s[2:3], 0x4
	s_load_dwordx2 s[0:1], s[2:3], 0xc4
	s_cmp_lt_u32 s24, 2
	s_waitcnt lgkmcnt(0)
	v_mul_hi_u32 v2, s9, v1
	v_add_nc_u32_e32 v2, v1, v2
	s_waitcnt vmcnt(0)
	v_lshrrev_b32_e32 v3, s10, v2
	v_mul_lo_u32 v2, v3, s8
	v_sub_nc_u32_e32 v1, v1, v2
	v_mul_lo_u32 v2, v1, s0
	v_mul_lo_u32 v9, v1, s1
	s_cbranch_scc1 .LBB19_1180
; %bb.1179:
	s_clause 0x1
	s_load_dwordx4 s[8:11], s[2:3], 0x10
	s_load_dwordx2 s[0:1], s[2:3], 0xcc
	s_waitcnt lgkmcnt(0)
	v_mul_hi_u32 v1, s9, v3
	v_add_nc_u32_e32 v1, v3, v1
	v_lshrrev_b32_e32 v1, s10, v1
	v_mul_lo_u32 v1, v1, s8
	v_sub_nc_u32_e32 v1, v3, v1
	v_mad_u64_u32 v[2:3], null, v1, s0, v[2:3]
	v_mad_u64_u32 v[9:10], null, v1, s1, v[9:10]
.LBB19_1180:
	v_cmp_ne_u32_e32 vcc_lo, 1, v0
	s_cbranch_vccnz .LBB19_1186
; %bb.1181:
	s_cmp_lg_u32 s24, 0
	s_mov_b32 s8, 0
	s_cbranch_scc0 .LBB19_1187
; %bb.1182:
	s_min_u32 s10, s25, 15
	s_add_i32 s10, s10, 1
	s_cmp_eq_u32 s25, 2
	s_cbranch_scc1 .LBB19_1188
; %bb.1183:
	v_mov_b32_e32 v7, 0
	v_mov_b32_e32 v0, 0
	;; [unrolled: 1-line block ×3, first 2 shown]
	s_and_b32 s9, s10, 28
	s_add_u32 s0, s2, 0xc4
	s_addc_u32 s1, s3, 0
	s_mov_b32 s11, 0
	s_mov_b64 s[6:7], s[2:3]
.LBB19_1184:                            ; =>This Inner Loop Header: Depth=1
	s_clause 0x1
	s_load_dwordx8 s[16:23], s[6:7], 0x4
	s_load_dwordx4 s[28:31], s[6:7], 0x24
	s_load_dwordx8 s[36:43], s[0:1], 0x0
	s_add_u32 s6, s6, 48
	s_addc_u32 s7, s7, 0
	s_add_i32 s11, s11, 4
	s_add_u32 s0, s0, 32
	s_addc_u32 s1, s1, 0
	s_cmp_lg_u32 s9, s11
	s_waitcnt vmcnt(0) lgkmcnt(0)
	v_mul_hi_u32 v3, s17, v1
	v_add_nc_u32_e32 v3, v1, v3
	v_lshrrev_b32_e32 v3, s18, v3
	v_mul_hi_u32 v5, s20, v3
	v_mul_lo_u32 v10, v3, s16
	v_add_nc_u32_e32 v5, v3, v5
	v_sub_nc_u32_e32 v1, v1, v10
	v_lshrrev_b32_e32 v5, s21, v5
	v_mul_lo_u32 v10, v1, s36
	v_mul_lo_u32 v14, v1, s37
	v_mul_hi_u32 v8, s23, v5
	v_add_nc_u32_e32 v8, v5, v8
	v_lshrrev_b32_e32 v8, s28, v8
	v_mul_hi_u32 v12, s30, v8
	v_mul_lo_u32 v16, v8, s22
	v_add_nc_u32_e32 v1, v8, v12
	v_mul_lo_u32 v12, v5, s19
	v_sub_nc_u32_e32 v5, v5, v16
	v_lshrrev_b32_e32 v1, s31, v1
	v_mul_lo_u32 v16, v5, s40
	v_mul_lo_u32 v5, v5, s41
	v_sub_nc_u32_e32 v3, v3, v12
	v_mul_lo_u32 v17, v1, s29
	v_mul_lo_u32 v12, v3, s38
	;; [unrolled: 1-line block ×3, first 2 shown]
	v_sub_nc_u32_e32 v8, v8, v17
	v_add3_u32 v0, v10, v0, v12
	v_mul_lo_u32 v17, v8, s42
	v_mul_lo_u32 v8, v8, s43
	v_add3_u32 v3, v14, v7, v3
	v_add3_u32 v0, v16, v0, v17
	;; [unrolled: 1-line block ×3, first 2 shown]
	s_cbranch_scc1 .LBB19_1184
; %bb.1185:
	s_and_b32 s10, s10, 3
	s_cmp_eq_u32 s10, 0
	s_cbranch_scc0 .LBB19_1189
	s_branch .LBB19_1191
.LBB19_1186:
	s_mov_b32 s8, -1
                                        ; implicit-def: $vgpr0
                                        ; implicit-def: $vgpr7
	s_branch .LBB19_1191
.LBB19_1187:
	v_mov_b32_e32 v0, 0
	v_mov_b32_e32 v7, 0
	s_branch .LBB19_1191
.LBB19_1188:
	v_mov_b32_e32 v0, 0
	v_mov_b32_e32 v7, 0
	;; [unrolled: 1-line block ×3, first 2 shown]
	s_mov_b32 s9, 0
	s_and_b32 s10, s10, 3
	s_cmp_eq_u32 s10, 0
	s_cbranch_scc1 .LBB19_1191
.LBB19_1189:
	s_lshl_b32 s0, s9, 3
	s_mul_i32 s6, s9, 12
	s_add_u32 s0, s2, s0
	s_addc_u32 s1, s3, 0
	s_add_u32 s0, s0, 0xc4
	s_addc_u32 s1, s1, 0
	;; [unrolled: 2-line block ×3, first 2 shown]
	.p2align	6
.LBB19_1190:                            ; =>This Inner Loop Header: Depth=1
	s_clause 0x1
	s_load_dwordx2 s[14:15], s[6:7], 0x4
	s_load_dword s9, s[6:7], 0xc
	s_load_dwordx2 s[16:17], s[0:1], 0x0
	s_add_u32 s6, s6, 12
	s_addc_u32 s7, s7, 0
	s_add_u32 s0, s0, 8
	s_addc_u32 s1, s1, 0
	s_add_i32 s10, s10, -1
	s_cmp_lg_u32 s10, 0
	s_waitcnt vmcnt(0) lgkmcnt(0)
	v_mul_hi_u32 v3, s15, v1
	v_add_nc_u32_e32 v3, v1, v3
	v_lshrrev_b32_e32 v3, s9, v3
	v_mul_lo_u32 v5, v3, s14
	v_sub_nc_u32_e32 v5, v1, v5
	v_mad_u64_u32 v[0:1], null, v5, s16, v[0:1]
	v_mad_u64_u32 v[7:8], null, v5, s17, v[7:8]
	v_mov_b32_e32 v1, v3
	s_cbranch_scc1 .LBB19_1190
.LBB19_1191:
	s_andn2_b32 vcc_lo, exec_lo, s8
	s_cbranch_vccnz .LBB19_1194
; %bb.1192:
	s_clause 0x1
	s_load_dwordx4 s[8:11], s[2:3], 0x4
	s_load_dwordx2 s[0:1], s[2:3], 0xc4
	s_cmp_lt_u32 s24, 2
	s_waitcnt lgkmcnt(0)
	v_mul_hi_u32 v0, s9, v15
	v_add_nc_u32_e32 v0, v15, v0
	v_lshrrev_b32_e32 v1, s10, v0
	v_mul_lo_u32 v0, v1, s8
	s_waitcnt vmcnt(0)
	v_sub_nc_u32_e32 v3, v15, v0
	v_mul_lo_u32 v0, v3, s0
	v_mul_lo_u32 v7, v3, s1
	s_cbranch_scc1 .LBB19_1194
; %bb.1193:
	s_clause 0x1
	s_load_dwordx4 s[8:11], s[2:3], 0x10
	s_load_dwordx2 s[0:1], s[2:3], 0xcc
	s_waitcnt lgkmcnt(0)
	v_mul_hi_u32 v3, s9, v1
	v_add_nc_u32_e32 v3, v1, v3
	v_lshrrev_b32_e32 v3, s10, v3
	v_mul_lo_u32 v3, v3, s8
	v_sub_nc_u32_e32 v3, v1, v3
	v_mad_u64_u32 v[0:1], null, v3, s0, v[0:1]
	v_mad_u64_u32 v[7:8], null, v3, s1, v[7:8]
.LBB19_1194:
	s_clause 0x1
	s_load_dwordx4 s[8:11], s[2:3], 0x148
	s_load_dword s2, s[4:5], 0x160
	s_waitcnt lgkmcnt(0)
	v_add_co_u32 v12, s0, s10, v13
	v_add_co_ci_u32_e64 v13, null, s11, 0, s0
	s_bfe_u32 s0, s2, 0x80010
	s_cmp_lt_i32 s0, 11
	s_cbranch_scc1 .LBB19_1201
; %bb.1195:
	s_and_b32 s1, 0xffff, s0
	s_mov_b32 s4, 0
	s_cmp_gt_i32 s1, 25
	s_cbranch_scc0 .LBB19_1203
; %bb.1196:
	s_cmp_gt_i32 s1, 28
	s_cbranch_scc0 .LBB19_1204
; %bb.1197:
	;; [unrolled: 3-line block ×4, first 2 shown]
	s_cmp_eq_u32 s1, 46
	s_mov_b32 s6, 0
	s_cbranch_scc0 .LBB19_1209
; %bb.1200:
	global_load_dword v1, v[12:13], off
	s_mov_b32 s3, 0
	s_mov_b32 s5, -1
	s_waitcnt vmcnt(0)
	v_lshlrev_b32_e32 v1, 16, v1
	s_branch .LBB19_1211
.LBB19_1201:
	s_mov_b32 s5, 0
	s_mov_b32 s1, s12
                                        ; implicit-def: $vgpr1
	s_cbranch_execnz .LBB19_1274
.LBB19_1202:
	s_andn2_b32 vcc_lo, exec_lo, s5
	s_cbranch_vccz .LBB19_1319
	s_branch .LBB19_1836
.LBB19_1203:
	s_mov_b32 s5, 0
	s_mov_b32 s3, 0
                                        ; implicit-def: $vgpr1
	s_cbranch_execnz .LBB19_1239
	s_branch .LBB19_1270
.LBB19_1204:
	s_mov_b32 s6, -1
	s_mov_b32 s5, 0
	s_mov_b32 s3, 0
                                        ; implicit-def: $vgpr1
	s_branch .LBB19_1220
.LBB19_1205:
	s_mov_b32 s5, 0
	s_mov_b32 s3, 0
                                        ; implicit-def: $vgpr1
	s_cbranch_execnz .LBB19_1216
	s_branch .LBB19_1219
.LBB19_1206:
	s_mov_b32 s6, -1
	s_mov_b32 s5, 0
	s_mov_b32 s3, 0
	s_branch .LBB19_1210
.LBB19_1207:
	s_andn2_saveexec_b32 s11, s11
	s_cbranch_execz .LBB19_1050
.LBB19_1208:
	v_add_f32_e64 v0, 0x46000000, |v1|
	s_andn2_b32 s10, s10, exec_lo
	v_and_b32_e32 v0, 0xff, v0
	v_cmp_ne_u32_e32 vcc_lo, 0, v0
	s_and_b32 s12, vcc_lo, exec_lo
	s_or_b32 s10, s10, s12
	s_or_b32 exec_lo, exec_lo, s11
	v_mov_b32_e32 v2, 0
	s_and_saveexec_b32 s11, s10
	s_cbranch_execnz .LBB19_1051
	s_branch .LBB19_1052
.LBB19_1209:
	s_mov_b32 s3, -1
	s_mov_b32 s5, 0
.LBB19_1210:
                                        ; implicit-def: $vgpr1
.LBB19_1211:
	s_and_b32 vcc_lo, exec_lo, s6
	s_cbranch_vccz .LBB19_1214
; %bb.1212:
	s_cmp_eq_u32 s1, 44
	s_cbranch_scc0 .LBB19_1215
; %bb.1213:
	global_load_ubyte v1, v[12:13], off
	s_mov_b32 s3, 0
	s_mov_b32 s5, -1
	s_waitcnt vmcnt(0)
	v_lshlrev_b32_e32 v3, 23, v1
	v_cmp_ne_u32_e32 vcc_lo, 0xff, v1
	v_cndmask_b32_e32 v3, 0x7f800001, v3, vcc_lo
	v_cmp_ne_u32_e32 vcc_lo, 0, v1
	v_cndmask_b32_e32 v1, 0x400000, v3, vcc_lo
.LBB19_1214:
	s_branch .LBB19_1219
.LBB19_1215:
	s_mov_b32 s3, -1
                                        ; implicit-def: $vgpr1
	s_branch .LBB19_1219
.LBB19_1216:
	s_cmp_eq_u32 s1, 29
	s_cbranch_scc0 .LBB19_1218
; %bb.1217:
	global_load_dwordx2 v[14:15], v[12:13], off
	s_mov_b32 s3, 0
	s_mov_b32 s5, -1
	s_mov_b32 s6, 0
	s_waitcnt vmcnt(0)
	v_ffbh_u32_e32 v1, v15
	v_min_u32_e32 v1, 32, v1
	v_lshlrev_b64 v[14:15], v1, v[14:15]
	v_sub_nc_u32_e32 v1, 32, v1
	v_min_u32_e32 v3, 1, v14
	v_or_b32_e32 v3, v15, v3
	v_cvt_f32_u32_e32 v3, v3
	v_ldexp_f32 v1, v3, v1
	s_branch .LBB19_1220
.LBB19_1218:
	s_mov_b32 s3, -1
                                        ; implicit-def: $vgpr1
.LBB19_1219:
	s_mov_b32 s6, 0
.LBB19_1220:
	s_and_b32 vcc_lo, exec_lo, s6
	s_cbranch_vccz .LBB19_1238
; %bb.1221:
	s_cmp_lt_i32 s1, 27
	s_cbranch_scc1 .LBB19_1224
; %bb.1222:
	s_cmp_gt_i32 s1, 27
	s_cbranch_scc0 .LBB19_1225
; %bb.1223:
	global_load_dword v1, v[12:13], off
	s_mov_b32 s5, 0
	s_waitcnt vmcnt(0)
	v_cvt_f32_u32_e32 v1, v1
	s_branch .LBB19_1226
.LBB19_1224:
	s_mov_b32 s5, -1
                                        ; implicit-def: $vgpr1
	s_branch .LBB19_1229
.LBB19_1225:
	s_mov_b32 s5, -1
                                        ; implicit-def: $vgpr1
.LBB19_1226:
	s_andn2_b32 vcc_lo, exec_lo, s5
	s_cbranch_vccnz .LBB19_1228
; %bb.1227:
	global_load_ushort v1, v[12:13], off
	s_waitcnt vmcnt(0)
	v_cvt_f32_u32_e32 v1, v1
.LBB19_1228:
	s_mov_b32 s5, 0
.LBB19_1229:
	s_andn2_b32 vcc_lo, exec_lo, s5
	s_cbranch_vccnz .LBB19_1237
; %bb.1230:
	global_load_ubyte v3, v[12:13], off
	s_mov_b32 s5, 0
	s_mov_b32 s6, exec_lo
	s_waitcnt vmcnt(0)
	v_cmpx_lt_i16_e32 0x7f, v3
	s_xor_b32 s6, exec_lo, s6
	s_cbranch_execz .LBB19_1250
; %bb.1231:
	s_mov_b32 s5, -1
	s_mov_b32 s7, exec_lo
	v_cmpx_eq_u16_e32 0x80, v3
; %bb.1232:
	s_xor_b32 s5, exec_lo, -1
; %bb.1233:
	s_or_b32 exec_lo, exec_lo, s7
	s_and_b32 s5, s5, exec_lo
	s_or_saveexec_b32 s6, s6
	v_mov_b32_e32 v1, 0x7f800001
	s_xor_b32 exec_lo, exec_lo, s6
	s_cbranch_execnz .LBB19_1251
.LBB19_1234:
	s_or_b32 exec_lo, exec_lo, s6
	s_and_saveexec_b32 s6, s5
	s_cbranch_execz .LBB19_1236
.LBB19_1235:
	v_and_b32_e32 v1, 0xffff, v3
	v_lshlrev_b32_e32 v3, 24, v3
	v_and_b32_e32 v5, 7, v1
	v_bfe_u32 v14, v1, 3, 4
	v_and_b32_e32 v3, 0x80000000, v3
	v_ffbh_u32_e32 v8, v5
	v_cmp_eq_u32_e32 vcc_lo, 0, v14
	v_min_u32_e32 v8, 32, v8
	v_subrev_nc_u32_e32 v10, 28, v8
	v_sub_nc_u32_e32 v8, 29, v8
	v_lshlrev_b32_e32 v1, v10, v1
	v_cndmask_b32_e32 v8, v14, v8, vcc_lo
	v_and_b32_e32 v1, 7, v1
	v_cndmask_b32_e32 v1, v5, v1, vcc_lo
	v_lshl_add_u32 v5, v8, 23, 0x3b800000
	v_lshlrev_b32_e32 v1, 20, v1
	v_or3_b32 v1, v3, v5, v1
.LBB19_1236:
	s_or_b32 exec_lo, exec_lo, s6
.LBB19_1237:
	s_mov_b32 s5, -1
.LBB19_1238:
	s_branch .LBB19_1270
.LBB19_1239:
	s_cmp_gt_i32 s1, 22
	s_cbranch_scc0 .LBB19_1249
; %bb.1240:
	s_cmp_lt_i32 s1, 24
	s_cbranch_scc1 .LBB19_1252
; %bb.1241:
	s_cmp_gt_i32 s1, 24
	s_cbranch_scc0 .LBB19_1253
; %bb.1242:
	global_load_ubyte v3, v[12:13], off
	s_mov_b32 s5, exec_lo
	s_waitcnt vmcnt(0)
	v_cmpx_lt_i16_e32 0x7f, v3
	s_xor_b32 s5, exec_lo, s5
	s_cbranch_execz .LBB19_1264
; %bb.1243:
	s_mov_b32 s4, -1
	s_mov_b32 s6, exec_lo
	v_cmpx_eq_u16_e32 0x80, v3
; %bb.1244:
	s_xor_b32 s4, exec_lo, -1
; %bb.1245:
	s_or_b32 exec_lo, exec_lo, s6
	s_and_b32 s4, s4, exec_lo
	s_or_saveexec_b32 s5, s5
	v_mov_b32_e32 v1, 0x7f800001
	s_xor_b32 exec_lo, exec_lo, s5
	s_cbranch_execnz .LBB19_1265
.LBB19_1246:
	s_or_b32 exec_lo, exec_lo, s5
	s_and_saveexec_b32 s5, s4
	s_cbranch_execz .LBB19_1248
.LBB19_1247:
	v_and_b32_e32 v1, 0xffff, v3
	v_lshlrev_b32_e32 v3, 24, v3
	v_and_b32_e32 v5, 3, v1
	v_bfe_u32 v14, v1, 2, 5
	v_and_b32_e32 v3, 0x80000000, v3
	v_ffbh_u32_e32 v8, v5
	v_cmp_eq_u32_e32 vcc_lo, 0, v14
	v_min_u32_e32 v8, 32, v8
	v_subrev_nc_u32_e32 v10, 29, v8
	v_sub_nc_u32_e32 v8, 30, v8
	v_lshlrev_b32_e32 v1, v10, v1
	v_cndmask_b32_e32 v8, v14, v8, vcc_lo
	v_and_b32_e32 v1, 3, v1
	v_cndmask_b32_e32 v1, v5, v1, vcc_lo
	v_lshl_add_u32 v5, v8, 23, 0x37800000
	v_lshlrev_b32_e32 v1, 21, v1
	v_or3_b32 v1, v3, v5, v1
.LBB19_1248:
	s_or_b32 exec_lo, exec_lo, s5
	s_mov_b32 s4, 0
	s_branch .LBB19_1254
.LBB19_1249:
                                        ; implicit-def: $vgpr1
	s_mov_b32 s4, 0
	s_branch .LBB19_1260
.LBB19_1250:
	s_or_saveexec_b32 s6, s6
	v_mov_b32_e32 v1, 0x7f800001
	s_xor_b32 exec_lo, exec_lo, s6
	s_cbranch_execz .LBB19_1234
.LBB19_1251:
	v_cmp_ne_u16_e32 vcc_lo, 0, v3
	v_mov_b32_e32 v1, 0
	s_andn2_b32 s5, s5, exec_lo
	s_and_b32 s7, vcc_lo, exec_lo
	s_or_b32 s5, s5, s7
	s_or_b32 exec_lo, exec_lo, s6
	s_and_saveexec_b32 s6, s5
	s_cbranch_execnz .LBB19_1235
	s_branch .LBB19_1236
.LBB19_1252:
	s_mov_b32 s4, -1
                                        ; implicit-def: $vgpr1
	s_branch .LBB19_1257
.LBB19_1253:
	s_mov_b32 s4, -1
                                        ; implicit-def: $vgpr1
.LBB19_1254:
	s_and_b32 vcc_lo, exec_lo, s4
	s_cbranch_vccz .LBB19_1256
; %bb.1255:
	global_load_ubyte v1, v[12:13], off
	s_waitcnt vmcnt(0)
	v_lshlrev_b32_e32 v1, 24, v1
	v_and_b32_e32 v3, 0x7f000000, v1
	v_ffbh_u32_e32 v5, v3
	v_add_nc_u32_e32 v10, 0x1000000, v3
	v_cmp_ne_u32_e32 vcc_lo, 0, v3
	v_min_u32_e32 v5, 32, v5
	v_sub_nc_u32_e64 v5, v5, 4 clamp
	v_lshlrev_b32_e32 v8, v5, v3
	v_lshlrev_b32_e32 v5, 23, v5
	v_lshrrev_b32_e32 v8, 4, v8
	v_sub_nc_u32_e32 v5, v8, v5
	v_ashrrev_i32_e32 v8, 8, v10
	v_add_nc_u32_e32 v5, 0x3c000000, v5
	v_and_or_b32 v5, 0x7f800000, v8, v5
	v_cndmask_b32_e32 v3, 0, v5, vcc_lo
	v_and_or_b32 v1, 0x80000000, v1, v3
.LBB19_1256:
	s_mov_b32 s4, 0
.LBB19_1257:
	s_andn2_b32 vcc_lo, exec_lo, s4
	s_cbranch_vccnz .LBB19_1259
; %bb.1258:
	global_load_ubyte v1, v[12:13], off
	s_waitcnt vmcnt(0)
	v_lshlrev_b32_e32 v3, 25, v1
	v_lshlrev_b16 v1, 8, v1
	v_lshrrev_b32_e32 v5, 4, v3
	v_and_or_b32 v8, 0x7f00, v1, 0.5
	v_cmp_gt_u32_e32 vcc_lo, 0x8000000, v3
	v_bfe_i32 v1, v1, 0, 16
	v_or_b32_e32 v5, 0x70000000, v5
	v_add_f32_e32 v8, -0.5, v8
	v_mul_f32_e32 v5, 0x7800000, v5
	v_cndmask_b32_e32 v3, v5, v8, vcc_lo
	v_and_or_b32 v1, 0x80000000, v1, v3
.LBB19_1259:
	s_mov_b32 s5, -1
	s_mov_b32 s4, 0
	s_cbranch_execnz .LBB19_1270
.LBB19_1260:
	s_cmp_gt_i32 s1, 14
	s_cbranch_scc0 .LBB19_1263
; %bb.1261:
	s_cmp_eq_u32 s1, 15
	s_cbranch_scc0 .LBB19_1266
; %bb.1262:
	global_load_ushort v1, v[12:13], off
	s_mov_b32 s3, 0
	s_mov_b32 s5, -1
	s_waitcnt vmcnt(0)
	v_lshlrev_b32_e32 v1, 16, v1
	s_branch .LBB19_1268
.LBB19_1263:
	s_mov_b32 s4, -1
	s_branch .LBB19_1267
.LBB19_1264:
	s_or_saveexec_b32 s5, s5
	v_mov_b32_e32 v1, 0x7f800001
	s_xor_b32 exec_lo, exec_lo, s5
	s_cbranch_execz .LBB19_1246
.LBB19_1265:
	v_cmp_ne_u16_e32 vcc_lo, 0, v3
	v_mov_b32_e32 v1, 0
	s_andn2_b32 s4, s4, exec_lo
	s_and_b32 s6, vcc_lo, exec_lo
	s_or_b32 s4, s4, s6
	s_or_b32 exec_lo, exec_lo, s5
	s_and_saveexec_b32 s5, s4
	s_cbranch_execnz .LBB19_1247
	s_branch .LBB19_1248
.LBB19_1266:
	s_mov_b32 s3, -1
.LBB19_1267:
                                        ; implicit-def: $vgpr1
.LBB19_1268:
	s_and_b32 vcc_lo, exec_lo, s4
	s_mov_b32 s4, 0
	s_cbranch_vccz .LBB19_1270
; %bb.1269:
	s_cmp_lg_u32 s1, 11
	s_mov_b32 s4, -1
	s_cselect_b32 s3, -1, 0
.LBB19_1270:
	s_and_b32 vcc_lo, exec_lo, s3
	s_mov_b32 s1, s12
	s_cbranch_vccnz .LBB19_1343
; %bb.1271:
	s_andn2_b32 vcc_lo, exec_lo, s4
	s_cbranch_vccnz .LBB19_1273
.LBB19_1272:
	global_load_ubyte v1, v[12:13], off
	s_mov_b32 s5, -1
	s_waitcnt vmcnt(0)
	v_cmp_ne_u16_e32 vcc_lo, 0, v1
	v_cndmask_b32_e64 v1, 0, 1.0, vcc_lo
.LBB19_1273:
	s_branch .LBB19_1202
.LBB19_1274:
	s_and_b32 s0, 0xffff, s0
	s_cmp_lt_i32 s0, 5
	s_cbranch_scc1 .LBB19_1279
; %bb.1275:
	s_cmp_lt_i32 s0, 8
	s_cbranch_scc1 .LBB19_1280
; %bb.1276:
	;; [unrolled: 3-line block ×3, first 2 shown]
	s_cmp_gt_i32 s0, 9
	s_cbranch_scc0 .LBB19_1282
; %bb.1278:
	global_load_dwordx2 v[14:15], v[12:13], off
	s_mov_b32 s3, 0
	s_waitcnt vmcnt(0)
	v_cvt_f32_f64_e32 v1, v[14:15]
	s_branch .LBB19_1283
.LBB19_1279:
                                        ; implicit-def: $vgpr1
	s_branch .LBB19_1300
.LBB19_1280:
                                        ; implicit-def: $vgpr1
	s_branch .LBB19_1289
.LBB19_1281:
	s_mov_b32 s3, -1
                                        ; implicit-def: $vgpr1
	s_branch .LBB19_1286
.LBB19_1282:
	s_mov_b32 s3, -1
                                        ; implicit-def: $vgpr1
.LBB19_1283:
	s_andn2_b32 vcc_lo, exec_lo, s3
	s_cbranch_vccnz .LBB19_1285
; %bb.1284:
	global_load_dword v1, v[12:13], off
.LBB19_1285:
	s_mov_b32 s3, 0
.LBB19_1286:
	s_andn2_b32 vcc_lo, exec_lo, s3
	s_cbranch_vccnz .LBB19_1288
; %bb.1287:
	global_load_dword v1, v[12:13], off
	s_waitcnt vmcnt(0)
	v_cvt_f32_f16_e32 v1, v1
.LBB19_1288:
	s_cbranch_execnz .LBB19_1299
.LBB19_1289:
	s_cmp_lt_i32 s0, 6
	s_cbranch_scc1 .LBB19_1292
; %bb.1290:
	s_cmp_gt_i32 s0, 6
	s_cbranch_scc0 .LBB19_1293
; %bb.1291:
	global_load_dwordx2 v[14:15], v[12:13], off
	s_mov_b32 s3, 0
	s_waitcnt vmcnt(0)
	v_cvt_f32_f64_e32 v1, v[14:15]
	s_branch .LBB19_1294
.LBB19_1292:
	s_mov_b32 s3, -1
                                        ; implicit-def: $vgpr1
	s_branch .LBB19_1297
.LBB19_1293:
	s_mov_b32 s3, -1
                                        ; implicit-def: $vgpr1
.LBB19_1294:
	s_andn2_b32 vcc_lo, exec_lo, s3
	s_cbranch_vccnz .LBB19_1296
; %bb.1295:
	global_load_dword v1, v[12:13], off
.LBB19_1296:
	s_mov_b32 s3, 0
.LBB19_1297:
	s_andn2_b32 vcc_lo, exec_lo, s3
	s_cbranch_vccnz .LBB19_1299
; %bb.1298:
	global_load_ushort v1, v[12:13], off
	s_waitcnt vmcnt(0)
	v_cvt_f32_f16_e32 v1, v1
.LBB19_1299:
	s_cbranch_execnz .LBB19_1318
.LBB19_1300:
	s_cmp_lt_i32 s0, 2
	s_cbranch_scc1 .LBB19_1304
; %bb.1301:
	s_cmp_lt_i32 s0, 3
	s_cbranch_scc1 .LBB19_1305
; %bb.1302:
	s_cmp_gt_i32 s0, 3
	s_cbranch_scc0 .LBB19_1306
; %bb.1303:
	global_load_dwordx2 v[14:15], v[12:13], off
	s_mov_b32 s3, 0
	s_waitcnt vmcnt(0)
	v_xor_b32_e32 v1, v14, v15
	v_ffbh_i32_e32 v3, v15
	v_ashrrev_i32_e32 v1, 31, v1
	v_add_nc_u32_e32 v3, -1, v3
	v_add_nc_u32_e32 v1, 32, v1
	v_min_u32_e32 v1, v3, v1
	v_lshlrev_b64 v[14:15], v1, v[14:15]
	v_sub_nc_u32_e32 v1, 32, v1
	v_min_u32_e32 v3, 1, v14
	v_or_b32_e32 v3, v15, v3
	v_cvt_f32_i32_e32 v3, v3
	v_ldexp_f32 v1, v3, v1
	s_branch .LBB19_1307
.LBB19_1304:
                                        ; implicit-def: $vgpr1
	s_branch .LBB19_1313
.LBB19_1305:
	s_mov_b32 s3, -1
                                        ; implicit-def: $vgpr1
	s_branch .LBB19_1310
.LBB19_1306:
	s_mov_b32 s3, -1
                                        ; implicit-def: $vgpr1
.LBB19_1307:
	s_andn2_b32 vcc_lo, exec_lo, s3
	s_cbranch_vccnz .LBB19_1309
; %bb.1308:
	global_load_dword v1, v[12:13], off
	s_waitcnt vmcnt(0)
	v_cvt_f32_i32_e32 v1, v1
.LBB19_1309:
	s_mov_b32 s3, 0
.LBB19_1310:
	s_andn2_b32 vcc_lo, exec_lo, s3
	s_cbranch_vccnz .LBB19_1312
; %bb.1311:
	global_load_sshort v1, v[12:13], off
	s_waitcnt vmcnt(0)
	v_cvt_f32_i32_e32 v1, v1
.LBB19_1312:
	s_cbranch_execnz .LBB19_1318
.LBB19_1313:
	s_cmp_gt_i32 s0, 0
	s_mov_b32 s0, 0
	s_cbranch_scc0 .LBB19_1315
; %bb.1314:
	global_load_sbyte v1, v[12:13], off
	s_waitcnt vmcnt(0)
	v_cvt_f32_i32_e32 v1, v1
	s_branch .LBB19_1316
.LBB19_1315:
	s_mov_b32 s0, -1
                                        ; implicit-def: $vgpr1
.LBB19_1316:
	s_andn2_b32 vcc_lo, exec_lo, s0
	s_cbranch_vccnz .LBB19_1318
; %bb.1317:
	global_load_ubyte v1, v[12:13], off
	s_waitcnt vmcnt(0)
	v_cvt_f32_ubyte0_e32 v1, v1
.LBB19_1318:
.LBB19_1319:
	s_waitcnt vmcnt(0)
	v_mul_f32_e64 v3, 0x3fb8aa3b, |v1|
	s_mov_b32 s3, exec_lo
                                        ; implicit-def: $vgpr5
	v_cmpx_ge_f32_e64 0x41000000, |v1|
	s_xor_b32 s3, exec_lo, s3
	s_cbranch_execz .LBB19_1325
; %bb.1320:
	v_fma_f32 v5, |v1|, 0.5, -2.0
	s_mov_b32 s0, 0x224cf950
	v_rndne_f32_e32 v12, v3
	v_fma_f32 v13, 0x3fb8aa3b, |v1|, -v3
	v_cmp_ngt_f32_e64 vcc_lo, 0xc2ce8ed0, |v1|
	v_fmaak_f32 v8, s0, v5, 0xa3c2be86
	v_cmp_nlt_f32_e64 s0, 0x42b17218, |v1|
	v_sub_f32_e32 v3, v3, v12
	v_fma_f32 v13, 0x32a5705f, |v1|, v13
	v_fmaak_f32 v10, v5, v8, 0xa24cf950
	v_add_f32_e32 v3, v3, v13
	v_add_f32_e32 v10, 0x25331f1f, v10
	v_exp_f32_e32 v3, v3
	v_fma_f32 v8, v5, v10, -v8
	v_add_f32_e32 v8, 0xa69f5554, v8
	v_fma_f32 v10, v5, v8, -v10
	v_add_f32_e32 v10, 0x2808ebf8, v10
	v_fma_f32 v8, v5, v10, -v8
	v_add_f32_e32 v8, 0xa9631471, v8
	v_fma_f32 v10, v5, v8, -v10
	v_add_f32_e32 v10, 0x2ab57bc2, v10
	v_fma_f32 v8, v5, v10, -v8
	v_add_f32_e32 v8, 0xac0b9c1b, v8
	v_fma_f32 v10, v5, v8, -v10
	v_add_f32_e32 v10, 0x2d4e7716, v10
	v_fma_f32 v8, v5, v10, -v8
	v_add_f32_e32 v8, 0xae92881d, v8
	v_fma_f32 v10, v5, v8, -v10
	v_add_f32_e32 v10, 0x2fc751a6, v10
	v_fma_f32 v8, v5, v10, -v8
	v_add_f32_e32 v8, 0xb101b0d9, v8
	v_fma_f32 v10, v5, v8, -v10
	v_add_f32_e32 v10, 0x32212c70, v10
	v_fma_f32 v8, v5, v10, -v8
	v_add_f32_e32 v8, 0xb33ee9f1, v8
	v_fma_f32 v10, v5, v8, -v10
	v_add_f32_e32 v10, 0x34571a26, v10
	v_fma_f32 v8, v5, v10, -v8
	v_add_f32_e32 v8, 0xb56603cc, v8
	v_fma_f32 v10, v5, v8, -v10
	v_add_f32_e32 v10, 0x3668e277, v10
	v_fma_f32 v8, v5, v10, -v8
	v_add_f32_e32 v8, 0xb75eafce, v8
	v_fma_f32 v10, v5, v8, -v10
	v_add_f32_e32 v10, 0x38488daa, v10
	v_fma_f32 v8, v5, v10, -v8
	v_add_f32_e32 v8, 0xb9299e57, v8
	v_fma_f32 v10, v5, v8, -v10
	v_add_f32_e32 v10, 0x3a064aee, v10
	v_fma_f32 v8, v5, v10, -v8
	v_add_f32_e32 v8, 0xbac66310, v8
	v_fma_f32 v10, v5, v8, -v10
	v_add_f32_e32 v10, 0x3b88329a, v10
	v_fma_f32 v8, v5, v10, -v8
	v_add_f32_e32 v8, 0xbc2d14fc, v8
	v_fma_f32 v10, v5, v8, -v10
	v_add_f32_e32 v10, 0x3cca8f1f, v10
	v_fma_f32 v8, v5, v10, -v8
	v_add_f32_e32 v8, 0xbd58dde3, v8
	v_fma_f32 v10, v5, v8, -v10
	v_add_f32_e32 v10, 0x3dd236d7, v10
	v_fma_f32 v8, v5, v10, -v8
	v_add_f32_e32 v8, 0xbe34a688, v8
	v_fma_f32 v5, v5, v8, -v10
	v_cvt_i32_f32_e32 v8, v12
	v_add_f32_e32 v5, 0x3e81531c, v5
	v_ldexp_f32 v3, v3, v8
	v_sub_f32_e32 v5, v5, v10
	v_cndmask_b32_e32 v8, 0, v3, vcc_lo
	v_cmp_ngt_f32_e32 vcc_lo, 0, v1
	v_mul_f32_e32 v5, 0.5, v5
	v_mul_f32_e64 v3, |v1|, v5
	v_cndmask_b32_e64 v1, 0x7f800000, v8, s0
                                        ; implicit-def: $vgpr5
	s_and_saveexec_b32 s0, vcc_lo
	s_xor_b32 s0, exec_lo, s0
; %bb.1321:
	v_mul_f32_e32 v5, v1, v3
                                        ; implicit-def: $vgpr1
                                        ; implicit-def: $vgpr3
; %bb.1322:
	s_andn2_saveexec_b32 s0, s0
; %bb.1323:
	v_mul_f32_e64 v5, v3, -v1
; %bb.1324:
	s_or_b32 exec_lo, exec_lo, s0
                                        ; implicit-def: $vgpr1
                                        ; implicit-def: $vgpr3
.LBB19_1325:
	s_andn2_saveexec_b32 s3, s3
	s_cbranch_execz .LBB19_1331
; %bb.1326:
	v_and_b32_e32 v5, 0x7fffffff, v1
	s_mov_b32 s0, 0x230aab6e
	v_div_scale_f32 v8, null, v5, v5, 0x42000000
	v_div_scale_f32 v5, vcc_lo, 0x42000000, v5, 0x42000000
	v_rcp_f32_e32 v10, v8
	v_fma_f32 v12, -v8, v10, 1.0
	v_fmac_f32_e32 v10, v12, v10
	v_mul_f32_e32 v12, v5, v10
	v_fma_f32 v13, -v8, v12, v5
	v_fmac_f32_e32 v12, v13, v10
	v_fma_f32 v13, 0x3fb8aa3b, |v1|, -v3
	v_fma_f32 v5, -v8, v12, v5
	v_fma_f32 v13, 0x32a5705f, |v1|, v13
	v_div_fmas_f32 v5, v5, v10, v12
	v_rndne_f32_e32 v12, v3
	v_cmp_ngt_f32_e64 vcc_lo, 0xc2ce8ed0, |v1|
	v_div_fixup_f32 v5, v5, |v1|, 0x42000000
	v_sub_f32_e32 v3, v3, v12
	v_cvt_i32_f32_e32 v12, v12
	v_add_f32_e32 v5, -2.0, v5
	v_add_f32_e32 v3, v3, v13
	v_fmaak_f32 v8, s0, v5, 0x22a2dc57
	v_exp_f32_e32 v3, v3
	v_cmp_nlt_f32_e64 s0, 0x42b17218, |v1|
	v_fmaak_f32 v10, v5, v8, 0xa30aab6e
	v_add_f32_e32 v10, 0xa456751e, v10
	v_ldexp_f32 v3, v3, v12
	v_fma_f32 v8, v5, v10, -v8
	v_cndmask_b32_e32 v3, 0, v3, vcc_lo
	v_add_f32_e32 v8, 0xa4140365, v8
	v_cndmask_b32_e64 v3, 0x7f800000, v3, s0
	s_mov_b32 s0, exec_lo
	v_fma_f32 v10, v5, v8, -v10
	v_add_f32_e32 v10, 0x25aac8b0, v10
	v_fma_f32 v8, v5, v10, -v8
	v_add_f32_e32 v8, 0x25beb473, v8
	;; [unrolled: 2-line block ×21, first 2 shown]
	v_sub_f32_e32 v8, v5, v10
                                        ; implicit-def: $vgpr5
	v_cmpx_ngt_f32_e32 0, v1
	s_xor_b32 s4, exec_lo, s0
	s_cbranch_execz .LBB19_1328
; %bb.1327:
	v_mul_f32_e64 v5, 0x4f800000, |v1|
	v_cmp_gt_f32_e64 vcc_lo, 0xf800000, |v1|
	v_mul_f32_e32 v8, 0.5, v8
	v_cndmask_b32_e64 v1, |v1|, v5, vcc_lo
	v_mul_f32_e32 v3, v3, v8
	v_sqrt_f32_e32 v5, v1
	v_add_nc_u32_e32 v10, -1, v5
	v_add_nc_u32_e32 v12, 1, v5
	v_fma_f32 v13, -v10, v5, v1
	v_fma_f32 v14, -v12, v5, v1
	v_cmp_ge_f32_e64 s0, 0, v13
	v_cndmask_b32_e64 v5, v5, v10, s0
	v_cmp_lt_f32_e64 s0, 0, v14
	v_cndmask_b32_e64 v5, v5, v12, s0
	v_mul_f32_e32 v10, 0x37800000, v5
	v_cndmask_b32_e32 v5, v5, v10, vcc_lo
	v_cmp_class_f32_e64 vcc_lo, v1, 0x260
	v_cndmask_b32_e32 v1, v5, v1, vcc_lo
	v_div_scale_f32 v5, null, v1, v1, v3
	v_rcp_f32_e32 v8, v5
	v_fma_f32 v10, -v5, v8, 1.0
	v_fmac_f32_e32 v8, v10, v8
	v_div_scale_f32 v10, vcc_lo, v3, v1, v3
	v_mul_f32_e32 v12, v10, v8
	v_fma_f32 v13, -v5, v12, v10
	v_fmac_f32_e32 v12, v13, v8
	v_fma_f32 v5, -v5, v12, v10
	v_div_fmas_f32 v5, v5, v8, v12
                                        ; implicit-def: $vgpr8
	v_div_fixup_f32 v5, v5, v1, v3
                                        ; implicit-def: $vgpr1
                                        ; implicit-def: $vgpr3
.LBB19_1328:
	s_andn2_saveexec_b32 s4, s4
	s_cbranch_execz .LBB19_1330
; %bb.1329:
	v_mul_f32_e64 v5, 0x4f800000, |v1|
	v_cmp_gt_f32_e64 vcc_lo, 0xf800000, |v1|
	v_mul_f32_e32 v8, -0.5, v8
	v_cndmask_b32_e64 v1, |v1|, v5, vcc_lo
	v_mul_f32_e32 v3, v3, v8
	v_sqrt_f32_e32 v5, v1
	v_add_nc_u32_e32 v10, -1, v5
	v_add_nc_u32_e32 v12, 1, v5
	v_fma_f32 v13, -v10, v5, v1
	v_fma_f32 v14, -v12, v5, v1
	v_cmp_ge_f32_e64 s0, 0, v13
	v_cndmask_b32_e64 v5, v5, v10, s0
	v_cmp_lt_f32_e64 s0, 0, v14
	v_cndmask_b32_e64 v5, v5, v12, s0
	v_mul_f32_e32 v10, 0x37800000, v5
	v_cndmask_b32_e32 v5, v5, v10, vcc_lo
	v_cmp_class_f32_e64 vcc_lo, v1, 0x260
	v_cndmask_b32_e32 v1, v5, v1, vcc_lo
	v_div_scale_f32 v5, null, v1, v1, v3
	v_rcp_f32_e32 v8, v5
	v_fma_f32 v10, -v5, v8, 1.0
	v_fmac_f32_e32 v8, v10, v8
	v_div_scale_f32 v10, vcc_lo, v3, v1, v3
	v_mul_f32_e32 v12, v10, v8
	v_fma_f32 v13, -v5, v12, v10
	v_fmac_f32_e32 v12, v13, v8
	v_fma_f32 v5, -v5, v12, v10
	v_div_fmas_f32 v5, v5, v8, v12
	v_div_fixup_f32 v5, v5, v1, v3
.LBB19_1330:
	s_or_b32 exec_lo, exec_lo, s4
.LBB19_1331:
	s_or_b32 exec_lo, exec_lo, s3
	v_add_co_u32 v10, s3, s10, v11
	s_lshr_b32 s0, s2, 16
	v_add_co_ci_u32_e64 v11, null, s11, 0, s3
	s_and_b32 s3, s0, 0xff
	s_cmp_lt_i32 s3, 11
	s_cbranch_scc1 .LBB19_1338
; %bb.1332:
	s_and_b32 s0, 0xffff, s3
	s_mov_b32 s5, 0
	s_cmp_gt_i32 s0, 25
	s_cbranch_scc0 .LBB19_1340
; %bb.1333:
	s_cmp_gt_i32 s0, 28
	s_cbranch_scc0 .LBB19_1341
; %bb.1334:
	;; [unrolled: 3-line block ×4, first 2 shown]
	s_cmp_eq_u32 s0, 46
	s_mov_b32 s7, 0
	s_cbranch_scc0 .LBB19_1347
; %bb.1337:
	global_load_dword v1, v[10:11], off
	s_mov_b32 s4, 0
	s_mov_b32 s6, -1
	s_waitcnt vmcnt(0)
	v_lshlrev_b32_e32 v1, 16, v1
	s_branch .LBB19_1349
.LBB19_1338:
	s_mov_b32 s6, 0
                                        ; implicit-def: $vgpr1
	s_cbranch_execnz .LBB19_1414
.LBB19_1339:
	s_andn2_b32 vcc_lo, exec_lo, s6
	s_cbranch_vccnz .LBB19_1836
	s_branch .LBB19_1461
.LBB19_1340:
	s_mov_b32 s6, 0
	s_mov_b32 s4, 0
                                        ; implicit-def: $vgpr1
	s_cbranch_execnz .LBB19_1378
	s_branch .LBB19_1410
.LBB19_1341:
	s_mov_b32 s7, -1
	s_mov_b32 s6, 0
	s_mov_b32 s4, 0
                                        ; implicit-def: $vgpr1
	s_branch .LBB19_1359
.LBB19_1342:
	s_mov_b32 s7, -1
	s_mov_b32 s6, 0
	s_mov_b32 s4, 0
                                        ; implicit-def: $vgpr1
	s_branch .LBB19_1354
.LBB19_1343:
	s_or_b32 s1, s12, exec_lo
	s_trap 2
	s_cbranch_execz .LBB19_1272
	s_branch .LBB19_1273
.LBB19_1344:
	s_mov_b32 s7, -1
	s_mov_b32 s6, 0
	s_mov_b32 s4, 0
	s_branch .LBB19_1348
.LBB19_1345:
	s_andn2_saveexec_b32 s12, s12
	s_cbranch_execz .LBB19_1062
.LBB19_1346:
	v_add_f32_e64 v0, 0x42800000, |v1|
	s_andn2_b32 s11, s11, exec_lo
	v_and_b32_e32 v0, 0xff, v0
	v_cmp_ne_u32_e32 vcc_lo, 0, v0
	s_and_b32 s13, vcc_lo, exec_lo
	s_or_b32 s11, s11, s13
	s_or_b32 exec_lo, exec_lo, s12
	v_mov_b32_e32 v2, 0
	s_and_saveexec_b32 s12, s11
	s_cbranch_execnz .LBB19_1063
	s_branch .LBB19_1064
.LBB19_1347:
	s_mov_b32 s4, -1
	s_mov_b32 s6, 0
.LBB19_1348:
                                        ; implicit-def: $vgpr1
.LBB19_1349:
	s_and_b32 vcc_lo, exec_lo, s7
	s_cbranch_vccz .LBB19_1353
; %bb.1350:
	s_cmp_eq_u32 s0, 44
	s_cbranch_scc0 .LBB19_1352
; %bb.1351:
	global_load_ubyte v1, v[10:11], off
	s_mov_b32 s4, 0
	s_mov_b32 s6, -1
	s_waitcnt vmcnt(0)
	v_lshlrev_b32_e32 v3, 23, v1
	v_cmp_ne_u32_e32 vcc_lo, 0xff, v1
	v_cndmask_b32_e32 v3, 0x7f800001, v3, vcc_lo
	v_cmp_ne_u32_e32 vcc_lo, 0, v1
	v_cndmask_b32_e32 v1, 0x400000, v3, vcc_lo
	s_branch .LBB19_1353
.LBB19_1352:
	s_mov_b32 s4, -1
                                        ; implicit-def: $vgpr1
.LBB19_1353:
	s_mov_b32 s7, 0
.LBB19_1354:
	s_and_b32 vcc_lo, exec_lo, s7
	s_cbranch_vccz .LBB19_1358
; %bb.1355:
	s_cmp_eq_u32 s0, 29
	s_cbranch_scc0 .LBB19_1357
; %bb.1356:
	global_load_dwordx2 v[12:13], v[10:11], off
	s_mov_b32 s4, 0
	s_mov_b32 s6, -1
	s_mov_b32 s7, 0
	s_waitcnt vmcnt(0)
	v_ffbh_u32_e32 v1, v13
	v_min_u32_e32 v1, 32, v1
	v_lshlrev_b64 v[12:13], v1, v[12:13]
	v_sub_nc_u32_e32 v1, 32, v1
	v_min_u32_e32 v3, 1, v12
	v_or_b32_e32 v3, v13, v3
	v_cvt_f32_u32_e32 v3, v3
	v_ldexp_f32 v1, v3, v1
	s_branch .LBB19_1359
.LBB19_1357:
	s_mov_b32 s4, -1
                                        ; implicit-def: $vgpr1
.LBB19_1358:
	s_mov_b32 s7, 0
.LBB19_1359:
	s_and_b32 vcc_lo, exec_lo, s7
	s_cbranch_vccz .LBB19_1377
; %bb.1360:
	s_cmp_lt_i32 s0, 27
	s_cbranch_scc1 .LBB19_1363
; %bb.1361:
	s_cmp_gt_i32 s0, 27
	s_cbranch_scc0 .LBB19_1364
; %bb.1362:
	global_load_dword v1, v[10:11], off
	s_mov_b32 s6, 0
	s_waitcnt vmcnt(0)
	v_cvt_f32_u32_e32 v1, v1
	s_branch .LBB19_1365
.LBB19_1363:
	s_mov_b32 s6, -1
                                        ; implicit-def: $vgpr1
	s_branch .LBB19_1368
.LBB19_1364:
	s_mov_b32 s6, -1
                                        ; implicit-def: $vgpr1
.LBB19_1365:
	s_andn2_b32 vcc_lo, exec_lo, s6
	s_cbranch_vccnz .LBB19_1367
; %bb.1366:
	global_load_ushort v1, v[10:11], off
	s_waitcnt vmcnt(0)
	v_cvt_f32_u32_e32 v1, v1
.LBB19_1367:
	s_mov_b32 s6, 0
.LBB19_1368:
	s_andn2_b32 vcc_lo, exec_lo, s6
	s_cbranch_vccnz .LBB19_1376
; %bb.1369:
	global_load_ubyte v3, v[10:11], off
	s_mov_b32 s6, 0
	s_mov_b32 s7, exec_lo
	s_waitcnt vmcnt(0)
	v_cmpx_lt_i16_e32 0x7f, v3
	s_xor_b32 s7, exec_lo, s7
	s_cbranch_execz .LBB19_1389
; %bb.1370:
	s_mov_b32 s6, -1
	s_mov_b32 s14, exec_lo
	v_cmpx_eq_u16_e32 0x80, v3
; %bb.1371:
	s_xor_b32 s6, exec_lo, -1
; %bb.1372:
	s_or_b32 exec_lo, exec_lo, s14
	s_and_b32 s6, s6, exec_lo
	s_or_saveexec_b32 s7, s7
	v_mov_b32_e32 v1, 0x7f800001
	s_xor_b32 exec_lo, exec_lo, s7
	s_cbranch_execnz .LBB19_1390
.LBB19_1373:
	s_or_b32 exec_lo, exec_lo, s7
	s_and_saveexec_b32 s7, s6
	s_cbranch_execz .LBB19_1375
.LBB19_1374:
	v_and_b32_e32 v1, 0xffff, v3
	v_lshlrev_b32_e32 v3, 24, v3
	v_and_b32_e32 v8, 7, v1
	v_bfe_u32 v14, v1, 3, 4
	v_and_b32_e32 v3, 0x80000000, v3
	v_ffbh_u32_e32 v12, v8
	v_cmp_eq_u32_e32 vcc_lo, 0, v14
	v_min_u32_e32 v12, 32, v12
	v_subrev_nc_u32_e32 v13, 28, v12
	v_sub_nc_u32_e32 v12, 29, v12
	v_lshlrev_b32_e32 v1, v13, v1
	v_cndmask_b32_e32 v12, v14, v12, vcc_lo
	v_and_b32_e32 v1, 7, v1
	v_cndmask_b32_e32 v1, v8, v1, vcc_lo
	v_lshl_add_u32 v8, v12, 23, 0x3b800000
	v_lshlrev_b32_e32 v1, 20, v1
	v_or3_b32 v1, v3, v8, v1
.LBB19_1375:
	s_or_b32 exec_lo, exec_lo, s7
.LBB19_1376:
	s_mov_b32 s6, -1
.LBB19_1377:
	s_branch .LBB19_1410
.LBB19_1378:
	s_cmp_gt_i32 s0, 22
	s_cbranch_scc0 .LBB19_1388
; %bb.1379:
	s_cmp_lt_i32 s0, 24
	s_cbranch_scc1 .LBB19_1391
; %bb.1380:
	s_cmp_gt_i32 s0, 24
	s_cbranch_scc0 .LBB19_1392
; %bb.1381:
	global_load_ubyte v3, v[10:11], off
	s_mov_b32 s6, exec_lo
	s_waitcnt vmcnt(0)
	v_cmpx_lt_i16_e32 0x7f, v3
	s_xor_b32 s6, exec_lo, s6
	s_cbranch_execz .LBB19_1404
; %bb.1382:
	s_mov_b32 s5, -1
	s_mov_b32 s7, exec_lo
	v_cmpx_eq_u16_e32 0x80, v3
; %bb.1383:
	s_xor_b32 s5, exec_lo, -1
; %bb.1384:
	s_or_b32 exec_lo, exec_lo, s7
	s_and_b32 s5, s5, exec_lo
	s_or_saveexec_b32 s6, s6
	v_mov_b32_e32 v1, 0x7f800001
	s_xor_b32 exec_lo, exec_lo, s6
	s_cbranch_execnz .LBB19_1405
.LBB19_1385:
	s_or_b32 exec_lo, exec_lo, s6
	s_and_saveexec_b32 s6, s5
	s_cbranch_execz .LBB19_1387
.LBB19_1386:
	v_and_b32_e32 v1, 0xffff, v3
	v_lshlrev_b32_e32 v3, 24, v3
	v_and_b32_e32 v8, 3, v1
	v_bfe_u32 v14, v1, 2, 5
	v_and_b32_e32 v3, 0x80000000, v3
	v_ffbh_u32_e32 v12, v8
	v_cmp_eq_u32_e32 vcc_lo, 0, v14
	v_min_u32_e32 v12, 32, v12
	v_subrev_nc_u32_e32 v13, 29, v12
	v_sub_nc_u32_e32 v12, 30, v12
	v_lshlrev_b32_e32 v1, v13, v1
	v_cndmask_b32_e32 v12, v14, v12, vcc_lo
	v_and_b32_e32 v1, 3, v1
	v_cndmask_b32_e32 v1, v8, v1, vcc_lo
	v_lshl_add_u32 v8, v12, 23, 0x37800000
	v_lshlrev_b32_e32 v1, 21, v1
	v_or3_b32 v1, v3, v8, v1
.LBB19_1387:
	s_or_b32 exec_lo, exec_lo, s6
	s_mov_b32 s5, 0
	s_branch .LBB19_1393
.LBB19_1388:
	s_mov_b32 s5, -1
                                        ; implicit-def: $vgpr1
	s_branch .LBB19_1399
.LBB19_1389:
	s_or_saveexec_b32 s7, s7
	v_mov_b32_e32 v1, 0x7f800001
	s_xor_b32 exec_lo, exec_lo, s7
	s_cbranch_execz .LBB19_1373
.LBB19_1390:
	v_cmp_ne_u16_e32 vcc_lo, 0, v3
	v_mov_b32_e32 v1, 0
	s_andn2_b32 s6, s6, exec_lo
	s_and_b32 s14, vcc_lo, exec_lo
	s_or_b32 s6, s6, s14
	s_or_b32 exec_lo, exec_lo, s7
	s_and_saveexec_b32 s7, s6
	s_cbranch_execnz .LBB19_1374
	s_branch .LBB19_1375
.LBB19_1391:
	s_mov_b32 s5, -1
                                        ; implicit-def: $vgpr1
	s_branch .LBB19_1396
.LBB19_1392:
	s_mov_b32 s5, -1
                                        ; implicit-def: $vgpr1
.LBB19_1393:
	s_and_b32 vcc_lo, exec_lo, s5
	s_cbranch_vccz .LBB19_1395
; %bb.1394:
	global_load_ubyte v1, v[10:11], off
	s_waitcnt vmcnt(0)
	v_lshlrev_b32_e32 v1, 24, v1
	v_and_b32_e32 v3, 0x7f000000, v1
	v_ffbh_u32_e32 v8, v3
	v_add_nc_u32_e32 v13, 0x1000000, v3
	v_cmp_ne_u32_e32 vcc_lo, 0, v3
	v_min_u32_e32 v8, 32, v8
	v_sub_nc_u32_e64 v8, v8, 4 clamp
	v_lshlrev_b32_e32 v12, v8, v3
	v_lshlrev_b32_e32 v8, 23, v8
	v_lshrrev_b32_e32 v12, 4, v12
	v_sub_nc_u32_e32 v8, v12, v8
	v_ashrrev_i32_e32 v12, 8, v13
	v_add_nc_u32_e32 v8, 0x3c000000, v8
	v_and_or_b32 v8, 0x7f800000, v12, v8
	v_cndmask_b32_e32 v3, 0, v8, vcc_lo
	v_and_or_b32 v1, 0x80000000, v1, v3
.LBB19_1395:
	s_mov_b32 s5, 0
.LBB19_1396:
	s_andn2_b32 vcc_lo, exec_lo, s5
	s_cbranch_vccnz .LBB19_1398
; %bb.1397:
	global_load_ubyte v1, v[10:11], off
	s_waitcnt vmcnt(0)
	v_lshlrev_b32_e32 v3, 25, v1
	v_lshlrev_b16 v1, 8, v1
	v_lshrrev_b32_e32 v8, 4, v3
	v_and_or_b32 v12, 0x7f00, v1, 0.5
	v_cmp_gt_u32_e32 vcc_lo, 0x8000000, v3
	v_bfe_i32 v1, v1, 0, 16
	v_or_b32_e32 v8, 0x70000000, v8
	v_add_f32_e32 v12, -0.5, v12
	v_mul_f32_e32 v8, 0x7800000, v8
	v_cndmask_b32_e32 v3, v8, v12, vcc_lo
	v_and_or_b32 v1, 0x80000000, v1, v3
.LBB19_1398:
	s_mov_b32 s5, 0
	s_mov_b32 s6, -1
.LBB19_1399:
	s_andn2_b32 vcc_lo, exec_lo, s5
	s_mov_b32 s5, 0
	s_cbranch_vccnz .LBB19_1410
; %bb.1400:
	s_cmp_gt_i32 s0, 14
	s_cbranch_scc0 .LBB19_1403
; %bb.1401:
	s_cmp_eq_u32 s0, 15
	s_cbranch_scc0 .LBB19_1406
; %bb.1402:
	global_load_ushort v1, v[10:11], off
	s_mov_b32 s4, 0
	s_mov_b32 s6, -1
	s_waitcnt vmcnt(0)
	v_lshlrev_b32_e32 v1, 16, v1
	s_branch .LBB19_1408
.LBB19_1403:
	s_mov_b32 s5, -1
	s_branch .LBB19_1407
.LBB19_1404:
	s_or_saveexec_b32 s6, s6
	v_mov_b32_e32 v1, 0x7f800001
	s_xor_b32 exec_lo, exec_lo, s6
	s_cbranch_execz .LBB19_1385
.LBB19_1405:
	v_cmp_ne_u16_e32 vcc_lo, 0, v3
	v_mov_b32_e32 v1, 0
	s_andn2_b32 s5, s5, exec_lo
	s_and_b32 s7, vcc_lo, exec_lo
	s_or_b32 s5, s5, s7
	s_or_b32 exec_lo, exec_lo, s6
	s_and_saveexec_b32 s6, s5
	s_cbranch_execnz .LBB19_1386
	s_branch .LBB19_1387
.LBB19_1406:
	s_mov_b32 s4, -1
.LBB19_1407:
                                        ; implicit-def: $vgpr1
.LBB19_1408:
	s_and_b32 vcc_lo, exec_lo, s5
	s_mov_b32 s5, 0
	s_cbranch_vccz .LBB19_1410
; %bb.1409:
	s_cmp_lg_u32 s0, 11
	s_mov_b32 s5, -1
	s_cselect_b32 s4, -1, 0
.LBB19_1410:
	s_and_b32 vcc_lo, exec_lo, s4
	s_cbranch_vccnz .LBB19_1485
; %bb.1411:
	s_andn2_b32 vcc_lo, exec_lo, s5
	s_cbranch_vccnz .LBB19_1413
.LBB19_1412:
	global_load_ubyte v1, v[10:11], off
	s_mov_b32 s6, -1
	s_waitcnt vmcnt(0)
	v_cmp_ne_u16_e32 vcc_lo, 0, v1
	v_cndmask_b32_e64 v1, 0, 1.0, vcc_lo
.LBB19_1413:
	s_branch .LBB19_1339
.LBB19_1414:
	s_and_b32 s0, 0xffff, s3
	s_cmp_lt_i32 s0, 5
	s_cbranch_scc1 .LBB19_1419
; %bb.1415:
	s_cmp_lt_i32 s0, 8
	s_cbranch_scc1 .LBB19_1420
; %bb.1416:
	;; [unrolled: 3-line block ×3, first 2 shown]
	s_cmp_gt_i32 s0, 9
	s_cbranch_scc0 .LBB19_1422
; %bb.1418:
	global_load_dwordx2 v[12:13], v[10:11], off
	s_mov_b32 s4, 0
	s_waitcnt vmcnt(0)
	v_cvt_f32_f64_e32 v1, v[12:13]
	s_branch .LBB19_1423
.LBB19_1419:
                                        ; implicit-def: $vgpr1
	s_branch .LBB19_1441
.LBB19_1420:
	s_mov_b32 s4, -1
                                        ; implicit-def: $vgpr1
	s_branch .LBB19_1429
.LBB19_1421:
	s_mov_b32 s4, -1
                                        ; implicit-def: $vgpr1
	s_branch .LBB19_1426
.LBB19_1422:
	s_mov_b32 s4, -1
                                        ; implicit-def: $vgpr1
.LBB19_1423:
	s_andn2_b32 vcc_lo, exec_lo, s4
	s_cbranch_vccnz .LBB19_1425
; %bb.1424:
	global_load_dword v1, v[10:11], off
.LBB19_1425:
	s_mov_b32 s4, 0
.LBB19_1426:
	s_andn2_b32 vcc_lo, exec_lo, s4
	s_cbranch_vccnz .LBB19_1428
; %bb.1427:
	global_load_dword v1, v[10:11], off
	s_waitcnt vmcnt(0)
	v_cvt_f32_f16_e32 v1, v1
.LBB19_1428:
	s_mov_b32 s4, 0
.LBB19_1429:
	s_andn2_b32 vcc_lo, exec_lo, s4
	s_cbranch_vccnz .LBB19_1440
; %bb.1430:
	s_cmp_lt_i32 s0, 6
	s_cbranch_scc1 .LBB19_1433
; %bb.1431:
	s_cmp_gt_i32 s0, 6
	s_cbranch_scc0 .LBB19_1434
; %bb.1432:
	global_load_dwordx2 v[12:13], v[10:11], off
	s_mov_b32 s4, 0
	s_waitcnt vmcnt(0)
	v_cvt_f32_f64_e32 v1, v[12:13]
	s_branch .LBB19_1435
.LBB19_1433:
	s_mov_b32 s4, -1
                                        ; implicit-def: $vgpr1
	s_branch .LBB19_1438
.LBB19_1434:
	s_mov_b32 s4, -1
                                        ; implicit-def: $vgpr1
.LBB19_1435:
	s_andn2_b32 vcc_lo, exec_lo, s4
	s_cbranch_vccnz .LBB19_1437
; %bb.1436:
	global_load_dword v1, v[10:11], off
.LBB19_1437:
	s_mov_b32 s4, 0
.LBB19_1438:
	s_andn2_b32 vcc_lo, exec_lo, s4
	s_cbranch_vccnz .LBB19_1440
; %bb.1439:
	global_load_ushort v1, v[10:11], off
	s_waitcnt vmcnt(0)
	v_cvt_f32_f16_e32 v1, v1
.LBB19_1440:
	s_cbranch_execnz .LBB19_1460
.LBB19_1441:
	s_cmp_lt_i32 s0, 2
	s_cbranch_scc1 .LBB19_1445
; %bb.1442:
	s_cmp_lt_i32 s0, 3
	s_cbranch_scc1 .LBB19_1446
; %bb.1443:
	s_cmp_gt_i32 s0, 3
	s_cbranch_scc0 .LBB19_1447
; %bb.1444:
	global_load_dwordx2 v[12:13], v[10:11], off
	s_mov_b32 s4, 0
	s_waitcnt vmcnt(0)
	v_xor_b32_e32 v1, v12, v13
	v_ffbh_i32_e32 v3, v13
	v_ashrrev_i32_e32 v1, 31, v1
	v_add_nc_u32_e32 v3, -1, v3
	v_add_nc_u32_e32 v1, 32, v1
	v_min_u32_e32 v1, v3, v1
	v_lshlrev_b64 v[12:13], v1, v[12:13]
	v_sub_nc_u32_e32 v1, 32, v1
	v_min_u32_e32 v3, 1, v12
	v_or_b32_e32 v3, v13, v3
	v_cvt_f32_i32_e32 v3, v3
	v_ldexp_f32 v1, v3, v1
	s_branch .LBB19_1448
.LBB19_1445:
	s_mov_b32 s4, -1
                                        ; implicit-def: $vgpr1
	s_branch .LBB19_1454
.LBB19_1446:
	s_mov_b32 s4, -1
                                        ; implicit-def: $vgpr1
	s_branch .LBB19_1451
.LBB19_1447:
	s_mov_b32 s4, -1
                                        ; implicit-def: $vgpr1
.LBB19_1448:
	s_andn2_b32 vcc_lo, exec_lo, s4
	s_cbranch_vccnz .LBB19_1450
; %bb.1449:
	global_load_dword v1, v[10:11], off
	s_waitcnt vmcnt(0)
	v_cvt_f32_i32_e32 v1, v1
.LBB19_1450:
	s_mov_b32 s4, 0
.LBB19_1451:
	s_andn2_b32 vcc_lo, exec_lo, s4
	s_cbranch_vccnz .LBB19_1453
; %bb.1452:
	global_load_sshort v1, v[10:11], off
	s_waitcnt vmcnt(0)
	v_cvt_f32_i32_e32 v1, v1
.LBB19_1453:
	s_mov_b32 s4, 0
.LBB19_1454:
	s_andn2_b32 vcc_lo, exec_lo, s4
	s_cbranch_vccnz .LBB19_1460
; %bb.1455:
	s_cmp_gt_i32 s0, 0
	s_mov_b32 s0, 0
	s_cbranch_scc0 .LBB19_1457
; %bb.1456:
	global_load_sbyte v1, v[10:11], off
	s_waitcnt vmcnt(0)
	v_cvt_f32_i32_e32 v1, v1
	s_branch .LBB19_1458
.LBB19_1457:
	s_mov_b32 s0, -1
                                        ; implicit-def: $vgpr1
.LBB19_1458:
	s_andn2_b32 vcc_lo, exec_lo, s0
	s_cbranch_vccnz .LBB19_1460
; %bb.1459:
	global_load_ubyte v1, v[10:11], off
	s_waitcnt vmcnt(0)
	v_cvt_f32_ubyte0_e32 v1, v1
.LBB19_1460:
.LBB19_1461:
	s_mov_b32 s4, exec_lo
                                        ; implicit-def: $vgpr3
	s_waitcnt vmcnt(0)
	v_cmpx_ge_f32_e64 0x41000000, |v1|
	s_xor_b32 s4, exec_lo, s4
	s_cbranch_execz .LBB19_1467
; %bb.1462:
	v_fma_f32 v3, |v1|, 0.5, -2.0
	s_mov_b32 s0, 0x224cf950
	v_mul_f32_e64 v11, 0x3fb8aa3b, |v1|
	v_cmp_ngt_f32_e64 vcc_lo, 0xc2ce8ed0, |v1|
	v_fmaak_f32 v8, s0, v3, 0xa3c2be86
	v_cmp_nlt_f32_e64 s0, 0x42b17218, |v1|
	v_rndne_f32_e32 v12, v11
	v_fma_f32 v13, 0x3fb8aa3b, |v1|, -v11
	v_fmaak_f32 v10, v3, v8, 0xa24cf950
	v_sub_f32_e32 v11, v11, v12
	v_fma_f32 v13, 0x32a5705f, |v1|, v13
	v_add_f32_e32 v10, 0x25331f1f, v10
	v_add_f32_e32 v11, v11, v13
	v_fma_f32 v8, v3, v10, -v8
	v_add_f32_e32 v8, 0xa69f5554, v8
	v_fma_f32 v10, v3, v8, -v10
	;; [unrolled: 2-line block ×26, first 2 shown]
	v_exp_f32_e32 v8, v11
	v_cvt_i32_f32_e32 v11, v12
	v_add_f32_e32 v3, 0x3e81531c, v3
	v_sub_f32_e32 v3, v3, v10
	v_ldexp_f32 v8, v8, v11
	v_mul_f32_e32 v3, 0.5, v3
	v_cndmask_b32_e32 v10, 0, v8, vcc_lo
	v_cmp_ngt_f32_e32 vcc_lo, 0, v1
	v_mul_f32_e64 v8, |v1|, v3
	v_cndmask_b32_e64 v1, 0x7f800000, v10, s0
                                        ; implicit-def: $vgpr3
	s_and_saveexec_b32 s0, vcc_lo
	s_xor_b32 s0, exec_lo, s0
; %bb.1463:
	v_mul_f32_e32 v3, v1, v8
                                        ; implicit-def: $vgpr1
                                        ; implicit-def: $vgpr8
; %bb.1464:
	s_andn2_saveexec_b32 s0, s0
; %bb.1465:
	v_mul_f32_e64 v3, v8, -v1
; %bb.1466:
	s_or_b32 exec_lo, exec_lo, s0
                                        ; implicit-def: $vgpr1
.LBB19_1467:
	s_andn2_saveexec_b32 s4, s4
	s_cbranch_execz .LBB19_1473
; %bb.1468:
	v_and_b32_e32 v3, 0x7fffffff, v1
	s_mov_b32 s0, 0x230aab6e
	v_div_scale_f32 v8, null, v3, v3, 0x42000000
	v_div_scale_f32 v3, vcc_lo, 0x42000000, v3, 0x42000000
	v_rcp_f32_e32 v10, v8
	v_fma_f32 v11, -v8, v10, 1.0
	v_fmac_f32_e32 v10, v11, v10
	v_mul_f32_e32 v11, v3, v10
	v_fma_f32 v12, -v8, v11, v3
	v_fmac_f32_e32 v11, v12, v10
	v_fma_f32 v3, -v8, v11, v3
	v_div_fmas_f32 v3, v3, v10, v11
	v_mul_f32_e64 v11, 0x3fb8aa3b, |v1|
	v_cmp_ngt_f32_e64 vcc_lo, 0xc2ce8ed0, |v1|
	v_div_fixup_f32 v3, v3, |v1|, 0x42000000
	v_rndne_f32_e32 v12, v11
	v_fma_f32 v13, 0x3fb8aa3b, |v1|, -v11
	v_add_f32_e32 v3, -2.0, v3
	v_sub_f32_e32 v11, v11, v12
	v_fma_f32 v13, 0x32a5705f, |v1|, v13
	v_cvt_i32_f32_e32 v12, v12
	v_fmaak_f32 v8, s0, v3, 0x22a2dc57
	v_cmp_nlt_f32_e64 s0, 0x42b17218, |v1|
	v_add_f32_e32 v11, v11, v13
	v_fmaak_f32 v10, v3, v8, 0xa30aab6e
	v_exp_f32_e32 v11, v11
	v_add_f32_e32 v10, 0xa456751e, v10
	v_fma_f32 v8, v3, v10, -v8
	v_ldexp_f32 v11, v11, v12
	v_add_f32_e32 v8, 0xa4140365, v8
	v_fma_f32 v10, v3, v8, -v10
	v_add_f32_e32 v10, 0x25aac8b0, v10
	v_fma_f32 v8, v3, v10, -v8
	v_add_f32_e32 v8, 0x25beb473, v8
	v_fma_f32 v10, v3, v8, -v10
	v_add_f32_e32 v10, 0xa7077e6c, v10
	v_fma_f32 v8, v3, v10, -v8
	v_add_f32_e32 v8, 0xa7896da9, v8
	v_fma_f32 v10, v3, v8, -v10
	v_add_f32_e32 v10, 0x283bb70c, v10
	v_fma_f32 v8, v3, v10, -v8
	v_add_f32_e32 v8, 0x294069e1, v8
	v_fma_f32 v10, v3, v8, -v10
	v_add_f32_e32 v10, 0xa8bd4a41, v10
	v_fma_f32 v8, v3, v10, -v8
	v_add_f32_e32 v8, 0xaae5e22c, v8
	v_fma_f32 v10, v3, v8, -v10
	v_add_f32_e32 v10, 0xab4a9f08, v10
	v_fma_f32 v8, v3, v10, -v8
	v_add_f32_e32 v8, 0x2c0f3ea0, v8
	v_fma_f32 v10, v3, v8, -v10
	v_add_f32_e32 v10, 0x2d7880fb, v10
	v_fma_f32 v8, v3, v10, -v8
	v_add_f32_e32 v8, 0x2e0f0d10, v8
	v_fma_f32 v10, v3, v8, -v10
	v_add_f32_e32 v10, 0xada6e7cf, v10
	v_fma_f32 v8, v3, v10, -v8
	v_add_f32_e32 v8, 0xb019a653, v8
	v_fma_f32 v10, v3, v8, -v10
	v_add_f32_e32 v10, 0xb183c85d, v10
	v_fma_f32 v8, v3, v10, -v8
	v_add_f32_e32 v8, 0xb2e20a9d, v8
	v_fma_f32 v10, v3, v8, -v10
	v_add_f32_e32 v10, 0xb486dfe9, v10
	v_fma_f32 v8, v3, v10, -v8
	v_add_f32_e32 v8, 0xb68246fa, v8
	v_fma_f32 v10, v3, v8, -v10
	v_add_f32_e32 v10, 0xb8e7ebfc, v10
	v_fma_f32 v8, v3, v10, -v8
	v_add_f32_e32 v8, 0xbc1fed03, v8
	v_fma_f32 v3, v3, v8, -v10
	v_cndmask_b32_e32 v8, 0, v11, vcc_lo
	v_add_f32_e32 v3, 0x3f4750c6, v3
	v_cndmask_b32_e64 v8, 0x7f800000, v8, s0
	s_mov_b32 s0, exec_lo
	v_sub_f32_e32 v10, v3, v10
                                        ; implicit-def: $vgpr3
	v_cmpx_ngt_f32_e32 0, v1
	s_xor_b32 s5, exec_lo, s0
	s_cbranch_execz .LBB19_1470
; %bb.1469:
	v_mul_f32_e64 v3, 0x4f800000, |v1|
	v_cmp_gt_f32_e64 vcc_lo, 0xf800000, |v1|
	v_mul_f32_e32 v10, 0.5, v10
	v_cndmask_b32_e64 v1, |v1|, v3, vcc_lo
	v_mul_f32_e32 v8, v8, v10
	v_sqrt_f32_e32 v3, v1
	v_add_nc_u32_e32 v11, -1, v3
	v_add_nc_u32_e32 v12, 1, v3
	v_fma_f32 v13, -v11, v3, v1
	v_fma_f32 v14, -v12, v3, v1
	v_cmp_ge_f32_e64 s0, 0, v13
	v_cndmask_b32_e64 v3, v3, v11, s0
	v_cmp_lt_f32_e64 s0, 0, v14
	v_cndmask_b32_e64 v3, v3, v12, s0
	v_mul_f32_e32 v11, 0x37800000, v3
	v_cndmask_b32_e32 v3, v3, v11, vcc_lo
	v_cmp_class_f32_e64 vcc_lo, v1, 0x260
	v_cndmask_b32_e32 v1, v3, v1, vcc_lo
	v_div_scale_f32 v3, null, v1, v1, v8
	v_rcp_f32_e32 v10, v3
	v_fma_f32 v11, -v3, v10, 1.0
	v_fmac_f32_e32 v10, v11, v10
	v_div_scale_f32 v11, vcc_lo, v8, v1, v8
	v_mul_f32_e32 v12, v11, v10
	v_fma_f32 v13, -v3, v12, v11
	v_fmac_f32_e32 v12, v13, v10
	v_fma_f32 v3, -v3, v12, v11
	v_div_fmas_f32 v3, v3, v10, v12
                                        ; implicit-def: $vgpr10
	v_div_fixup_f32 v3, v3, v1, v8
                                        ; implicit-def: $vgpr1
                                        ; implicit-def: $vgpr8
.LBB19_1470:
	s_andn2_saveexec_b32 s5, s5
	s_cbranch_execz .LBB19_1472
; %bb.1471:
	v_mul_f32_e64 v3, 0x4f800000, |v1|
	v_cmp_gt_f32_e64 vcc_lo, 0xf800000, |v1|
	v_mul_f32_e32 v10, -0.5, v10
	v_cndmask_b32_e64 v1, |v1|, v3, vcc_lo
	v_mul_f32_e32 v8, v8, v10
	v_sqrt_f32_e32 v3, v1
	v_add_nc_u32_e32 v11, -1, v3
	v_add_nc_u32_e32 v12, 1, v3
	v_fma_f32 v13, -v11, v3, v1
	v_fma_f32 v14, -v12, v3, v1
	v_cmp_ge_f32_e64 s0, 0, v13
	v_cndmask_b32_e64 v3, v3, v11, s0
	v_cmp_lt_f32_e64 s0, 0, v14
	v_cndmask_b32_e64 v3, v3, v12, s0
	v_mul_f32_e32 v11, 0x37800000, v3
	v_cndmask_b32_e32 v3, v3, v11, vcc_lo
	v_cmp_class_f32_e64 vcc_lo, v1, 0x260
	v_cndmask_b32_e32 v1, v3, v1, vcc_lo
	v_div_scale_f32 v3, null, v1, v1, v8
	v_rcp_f32_e32 v10, v3
	v_fma_f32 v11, -v3, v10, 1.0
	v_fmac_f32_e32 v10, v11, v10
	v_div_scale_f32 v11, vcc_lo, v8, v1, v8
	v_mul_f32_e32 v12, v11, v10
	v_fma_f32 v13, -v3, v12, v11
	v_fmac_f32_e32 v12, v13, v10
	v_fma_f32 v3, -v3, v12, v11
	v_div_fmas_f32 v3, v3, v10, v12
	v_div_fixup_f32 v3, v3, v1, v8
.LBB19_1472:
	s_or_b32 exec_lo, exec_lo, s5
.LBB19_1473:
	s_or_b32 exec_lo, exec_lo, s4
	v_add_co_u32 v8, s0, s10, v9
	v_add_co_ci_u32_e64 v9, null, s11, 0, s0
	s_cmp_lt_i32 s3, 11
	s_cbranch_scc1 .LBB19_1480
; %bb.1474:
	s_and_b32 s0, 0xffff, s3
	s_mov_b32 s5, 0
	s_cmp_gt_i32 s0, 25
	s_cbranch_scc0 .LBB19_1482
; %bb.1475:
	s_cmp_gt_i32 s0, 28
	s_cbranch_scc0 .LBB19_1483
; %bb.1476:
	s_cmp_gt_i32 s0, 43
	s_cbranch_scc0 .LBB19_1484
; %bb.1477:
	s_cmp_gt_i32 s0, 45
	s_cbranch_scc0 .LBB19_1486
; %bb.1478:
	s_cmp_eq_u32 s0, 46
	s_mov_b32 s7, 0
	s_cbranch_scc0 .LBB19_1487
; %bb.1479:
	global_load_dword v1, v[8:9], off
	s_mov_b32 s4, 0
	s_mov_b32 s6, -1
	s_waitcnt vmcnt(0)
	v_lshlrev_b32_e32 v10, 16, v1
	s_branch .LBB19_1489
.LBB19_1480:
	s_mov_b32 s6, 0
                                        ; implicit-def: $vgpr10
	s_cbranch_execnz .LBB19_1555
.LBB19_1481:
	s_andn2_b32 vcc_lo, exec_lo, s6
	s_cbranch_vccnz .LBB19_1836
	s_branch .LBB19_1603
.LBB19_1482:
	s_mov_b32 s7, -1
	s_mov_b32 s6, 0
	s_mov_b32 s4, 0
                                        ; implicit-def: $vgpr10
	s_branch .LBB19_1518
.LBB19_1483:
	s_mov_b32 s7, -1
	s_mov_b32 s6, 0
	s_mov_b32 s4, 0
                                        ; implicit-def: $vgpr10
	s_branch .LBB19_1499
.LBB19_1484:
	s_mov_b32 s7, -1
	s_mov_b32 s6, 0
	s_mov_b32 s4, 0
                                        ; implicit-def: $vgpr10
	s_branch .LBB19_1494
.LBB19_1485:
	s_or_b32 s1, s1, exec_lo
	s_trap 2
	s_cbranch_execz .LBB19_1412
	s_branch .LBB19_1413
.LBB19_1486:
	s_mov_b32 s7, -1
	s_mov_b32 s6, 0
	s_mov_b32 s4, 0
	s_branch .LBB19_1488
.LBB19_1487:
	s_mov_b32 s4, -1
	s_mov_b32 s6, 0
.LBB19_1488:
                                        ; implicit-def: $vgpr10
.LBB19_1489:
	s_and_b32 vcc_lo, exec_lo, s7
	s_cbranch_vccz .LBB19_1493
; %bb.1490:
	s_cmp_eq_u32 s0, 44
	s_cbranch_scc0 .LBB19_1492
; %bb.1491:
	global_load_ubyte v1, v[8:9], off
	s_mov_b32 s4, 0
	s_mov_b32 s6, -1
	s_waitcnt vmcnt(0)
	v_lshlrev_b32_e32 v10, 23, v1
	v_cmp_ne_u32_e32 vcc_lo, 0xff, v1
	v_cndmask_b32_e32 v10, 0x7f800001, v10, vcc_lo
	v_cmp_ne_u32_e32 vcc_lo, 0, v1
	v_cndmask_b32_e32 v10, 0x400000, v10, vcc_lo
	s_branch .LBB19_1493
.LBB19_1492:
	s_mov_b32 s4, -1
                                        ; implicit-def: $vgpr10
.LBB19_1493:
	s_mov_b32 s7, 0
.LBB19_1494:
	s_and_b32 vcc_lo, exec_lo, s7
	s_cbranch_vccz .LBB19_1498
; %bb.1495:
	s_cmp_eq_u32 s0, 29
	s_cbranch_scc0 .LBB19_1497
; %bb.1496:
	global_load_dwordx2 v[10:11], v[8:9], off
	s_mov_b32 s4, 0
	s_mov_b32 s6, -1
	s_mov_b32 s7, 0
	s_waitcnt vmcnt(0)
	v_ffbh_u32_e32 v1, v11
	v_min_u32_e32 v1, 32, v1
	v_lshlrev_b64 v[10:11], v1, v[10:11]
	v_sub_nc_u32_e32 v1, 32, v1
	v_min_u32_e32 v10, 1, v10
	v_or_b32_e32 v10, v11, v10
	v_cvt_f32_u32_e32 v10, v10
	v_ldexp_f32 v10, v10, v1
	s_branch .LBB19_1499
.LBB19_1497:
	s_mov_b32 s4, -1
                                        ; implicit-def: $vgpr10
.LBB19_1498:
	s_mov_b32 s7, 0
.LBB19_1499:
	s_and_b32 vcc_lo, exec_lo, s7
	s_cbranch_vccz .LBB19_1517
; %bb.1500:
	s_cmp_lt_i32 s0, 27
	s_cbranch_scc1 .LBB19_1503
; %bb.1501:
	s_cmp_gt_i32 s0, 27
	s_cbranch_scc0 .LBB19_1504
; %bb.1502:
	global_load_dword v1, v[8:9], off
	s_mov_b32 s6, 0
	s_waitcnt vmcnt(0)
	v_cvt_f32_u32_e32 v10, v1
	s_branch .LBB19_1505
.LBB19_1503:
	s_mov_b32 s6, -1
                                        ; implicit-def: $vgpr10
	s_branch .LBB19_1508
.LBB19_1504:
	s_mov_b32 s6, -1
                                        ; implicit-def: $vgpr10
.LBB19_1505:
	s_andn2_b32 vcc_lo, exec_lo, s6
	s_cbranch_vccnz .LBB19_1507
; %bb.1506:
	global_load_ushort v1, v[8:9], off
	s_waitcnt vmcnt(0)
	v_cvt_f32_u32_e32 v10, v1
.LBB19_1507:
	s_mov_b32 s6, 0
.LBB19_1508:
	s_andn2_b32 vcc_lo, exec_lo, s6
	s_cbranch_vccnz .LBB19_1516
; %bb.1509:
	global_load_ubyte v1, v[8:9], off
	s_mov_b32 s6, 0
	s_mov_b32 s7, exec_lo
	s_waitcnt vmcnt(0)
	v_cmpx_lt_i16_e32 0x7f, v1
	s_xor_b32 s7, exec_lo, s7
	s_cbranch_execz .LBB19_1530
; %bb.1510:
	s_mov_b32 s6, -1
	s_mov_b32 s14, exec_lo
	v_cmpx_eq_u16_e32 0x80, v1
; %bb.1511:
	s_xor_b32 s6, exec_lo, -1
; %bb.1512:
	s_or_b32 exec_lo, exec_lo, s14
	s_and_b32 s6, s6, exec_lo
	s_or_saveexec_b32 s7, s7
	v_mov_b32_e32 v10, 0x7f800001
	s_xor_b32 exec_lo, exec_lo, s7
	s_cbranch_execnz .LBB19_1531
.LBB19_1513:
	s_or_b32 exec_lo, exec_lo, s7
	s_and_saveexec_b32 s7, s6
	s_cbranch_execz .LBB19_1515
.LBB19_1514:
	v_and_b32_e32 v10, 0xffff, v1
	v_lshlrev_b32_e32 v1, 24, v1
	v_and_b32_e32 v11, 7, v10
	v_bfe_u32 v14, v10, 3, 4
	v_and_b32_e32 v1, 0x80000000, v1
	v_ffbh_u32_e32 v12, v11
	v_cmp_eq_u32_e32 vcc_lo, 0, v14
	v_min_u32_e32 v12, 32, v12
	v_subrev_nc_u32_e32 v13, 28, v12
	v_sub_nc_u32_e32 v12, 29, v12
	v_lshlrev_b32_e32 v10, v13, v10
	v_cndmask_b32_e32 v12, v14, v12, vcc_lo
	v_and_b32_e32 v10, 7, v10
	v_cndmask_b32_e32 v10, v11, v10, vcc_lo
	v_lshl_add_u32 v11, v12, 23, 0x3b800000
	v_lshlrev_b32_e32 v10, 20, v10
	v_or3_b32 v10, v1, v11, v10
.LBB19_1515:
	s_or_b32 exec_lo, exec_lo, s7
.LBB19_1516:
	s_mov_b32 s6, -1
.LBB19_1517:
	s_mov_b32 s7, 0
.LBB19_1518:
	s_and_b32 vcc_lo, exec_lo, s7
	s_cbranch_vccz .LBB19_1551
; %bb.1519:
	s_cmp_gt_i32 s0, 22
	s_cbranch_scc0 .LBB19_1529
; %bb.1520:
	s_cmp_lt_i32 s0, 24
	s_cbranch_scc1 .LBB19_1532
; %bb.1521:
	s_cmp_gt_i32 s0, 24
	s_cbranch_scc0 .LBB19_1533
; %bb.1522:
	global_load_ubyte v1, v[8:9], off
	s_mov_b32 s6, exec_lo
	s_waitcnt vmcnt(0)
	v_cmpx_lt_i16_e32 0x7f, v1
	s_xor_b32 s6, exec_lo, s6
	s_cbranch_execz .LBB19_1545
; %bb.1523:
	s_mov_b32 s5, -1
	s_mov_b32 s7, exec_lo
	v_cmpx_eq_u16_e32 0x80, v1
; %bb.1524:
	s_xor_b32 s5, exec_lo, -1
; %bb.1525:
	s_or_b32 exec_lo, exec_lo, s7
	s_and_b32 s5, s5, exec_lo
	s_or_saveexec_b32 s6, s6
	v_mov_b32_e32 v10, 0x7f800001
	s_xor_b32 exec_lo, exec_lo, s6
	s_cbranch_execnz .LBB19_1546
.LBB19_1526:
	s_or_b32 exec_lo, exec_lo, s6
	s_and_saveexec_b32 s6, s5
	s_cbranch_execz .LBB19_1528
.LBB19_1527:
	v_and_b32_e32 v10, 0xffff, v1
	v_lshlrev_b32_e32 v1, 24, v1
	v_and_b32_e32 v11, 3, v10
	v_bfe_u32 v14, v10, 2, 5
	v_and_b32_e32 v1, 0x80000000, v1
	v_ffbh_u32_e32 v12, v11
	v_cmp_eq_u32_e32 vcc_lo, 0, v14
	v_min_u32_e32 v12, 32, v12
	v_subrev_nc_u32_e32 v13, 29, v12
	v_sub_nc_u32_e32 v12, 30, v12
	v_lshlrev_b32_e32 v10, v13, v10
	v_cndmask_b32_e32 v12, v14, v12, vcc_lo
	v_and_b32_e32 v10, 3, v10
	v_cndmask_b32_e32 v10, v11, v10, vcc_lo
	v_lshl_add_u32 v11, v12, 23, 0x37800000
	v_lshlrev_b32_e32 v10, 21, v10
	v_or3_b32 v10, v1, v11, v10
.LBB19_1528:
	s_or_b32 exec_lo, exec_lo, s6
	s_mov_b32 s5, 0
	s_branch .LBB19_1534
.LBB19_1529:
	s_mov_b32 s5, -1
                                        ; implicit-def: $vgpr10
	s_branch .LBB19_1540
.LBB19_1530:
	s_or_saveexec_b32 s7, s7
	v_mov_b32_e32 v10, 0x7f800001
	s_xor_b32 exec_lo, exec_lo, s7
	s_cbranch_execz .LBB19_1513
.LBB19_1531:
	v_cmp_ne_u16_e32 vcc_lo, 0, v1
	v_mov_b32_e32 v10, 0
	s_andn2_b32 s6, s6, exec_lo
	s_and_b32 s14, vcc_lo, exec_lo
	s_or_b32 s6, s6, s14
	s_or_b32 exec_lo, exec_lo, s7
	s_and_saveexec_b32 s7, s6
	s_cbranch_execnz .LBB19_1514
	s_branch .LBB19_1515
.LBB19_1532:
	s_mov_b32 s5, -1
                                        ; implicit-def: $vgpr10
	s_branch .LBB19_1537
.LBB19_1533:
	s_mov_b32 s5, -1
                                        ; implicit-def: $vgpr10
.LBB19_1534:
	s_and_b32 vcc_lo, exec_lo, s5
	s_cbranch_vccz .LBB19_1536
; %bb.1535:
	global_load_ubyte v1, v[8:9], off
	s_waitcnt vmcnt(0)
	v_lshlrev_b32_e32 v1, 24, v1
	v_and_b32_e32 v10, 0x7f000000, v1
	v_ffbh_u32_e32 v11, v10
	v_add_nc_u32_e32 v13, 0x1000000, v10
	v_cmp_ne_u32_e32 vcc_lo, 0, v10
	v_min_u32_e32 v11, 32, v11
	v_sub_nc_u32_e64 v11, v11, 4 clamp
	v_lshlrev_b32_e32 v12, v11, v10
	v_lshlrev_b32_e32 v11, 23, v11
	v_lshrrev_b32_e32 v12, 4, v12
	v_sub_nc_u32_e32 v11, v12, v11
	v_ashrrev_i32_e32 v12, 8, v13
	v_add_nc_u32_e32 v11, 0x3c000000, v11
	v_and_or_b32 v11, 0x7f800000, v12, v11
	v_cndmask_b32_e32 v10, 0, v11, vcc_lo
	v_and_or_b32 v10, 0x80000000, v1, v10
.LBB19_1536:
	s_mov_b32 s5, 0
.LBB19_1537:
	s_andn2_b32 vcc_lo, exec_lo, s5
	s_cbranch_vccnz .LBB19_1539
; %bb.1538:
	global_load_ubyte v1, v[8:9], off
	s_waitcnt vmcnt(0)
	v_lshlrev_b32_e32 v10, 25, v1
	v_lshlrev_b16 v1, 8, v1
	v_lshrrev_b32_e32 v11, 4, v10
	v_and_or_b32 v12, 0x7f00, v1, 0.5
	v_cmp_gt_u32_e32 vcc_lo, 0x8000000, v10
	v_bfe_i32 v1, v1, 0, 16
	v_or_b32_e32 v11, 0x70000000, v11
	v_add_f32_e32 v12, -0.5, v12
	v_mul_f32_e32 v11, 0x7800000, v11
	v_cndmask_b32_e32 v10, v11, v12, vcc_lo
	v_and_or_b32 v10, 0x80000000, v1, v10
.LBB19_1539:
	s_mov_b32 s5, 0
	s_mov_b32 s6, -1
.LBB19_1540:
	s_andn2_b32 vcc_lo, exec_lo, s5
	s_mov_b32 s5, 0
	s_cbranch_vccnz .LBB19_1551
; %bb.1541:
	s_cmp_gt_i32 s0, 14
	s_cbranch_scc0 .LBB19_1544
; %bb.1542:
	s_cmp_eq_u32 s0, 15
	s_cbranch_scc0 .LBB19_1547
; %bb.1543:
	global_load_ushort v1, v[8:9], off
	s_mov_b32 s4, 0
	s_mov_b32 s6, -1
	s_waitcnt vmcnt(0)
	v_lshlrev_b32_e32 v10, 16, v1
	s_branch .LBB19_1549
.LBB19_1544:
	s_mov_b32 s5, -1
	s_branch .LBB19_1548
.LBB19_1545:
	s_or_saveexec_b32 s6, s6
	v_mov_b32_e32 v10, 0x7f800001
	s_xor_b32 exec_lo, exec_lo, s6
	s_cbranch_execz .LBB19_1526
.LBB19_1546:
	v_cmp_ne_u16_e32 vcc_lo, 0, v1
	v_mov_b32_e32 v10, 0
	s_andn2_b32 s5, s5, exec_lo
	s_and_b32 s7, vcc_lo, exec_lo
	s_or_b32 s5, s5, s7
	s_or_b32 exec_lo, exec_lo, s6
	s_and_saveexec_b32 s6, s5
	s_cbranch_execnz .LBB19_1527
	s_branch .LBB19_1528
.LBB19_1547:
	s_mov_b32 s4, -1
.LBB19_1548:
                                        ; implicit-def: $vgpr10
.LBB19_1549:
	s_and_b32 vcc_lo, exec_lo, s5
	s_mov_b32 s5, 0
	s_cbranch_vccz .LBB19_1551
; %bb.1550:
	s_cmp_lg_u32 s0, 11
	s_mov_b32 s5, -1
	s_cselect_b32 s4, -1, 0
.LBB19_1551:
	s_and_b32 vcc_lo, exec_lo, s4
	s_cbranch_vccnz .LBB19_1626
; %bb.1552:
	s_andn2_b32 vcc_lo, exec_lo, s5
	s_cbranch_vccnz .LBB19_1554
.LBB19_1553:
	global_load_ubyte v1, v[8:9], off
	s_mov_b32 s6, -1
	s_waitcnt vmcnt(0)
	v_cmp_ne_u16_e32 vcc_lo, 0, v1
	v_cndmask_b32_e64 v10, 0, 1.0, vcc_lo
.LBB19_1554:
	s_branch .LBB19_1481
.LBB19_1555:
	s_and_b32 s0, 0xffff, s3
	s_cmp_lt_i32 s0, 5
	s_cbranch_scc1 .LBB19_1560
; %bb.1556:
	s_cmp_lt_i32 s0, 8
	s_cbranch_scc1 .LBB19_1561
; %bb.1557:
	;; [unrolled: 3-line block ×3, first 2 shown]
	s_cmp_gt_i32 s0, 9
	s_cbranch_scc0 .LBB19_1563
; %bb.1559:
	global_load_dwordx2 v[10:11], v[8:9], off
	s_mov_b32 s4, 0
	s_waitcnt vmcnt(0)
	v_cvt_f32_f64_e32 v10, v[10:11]
	s_branch .LBB19_1564
.LBB19_1560:
	s_mov_b32 s4, -1
                                        ; implicit-def: $vgpr10
	s_branch .LBB19_1582
.LBB19_1561:
	s_mov_b32 s4, -1
                                        ; implicit-def: $vgpr10
	s_branch .LBB19_1570
.LBB19_1562:
	s_mov_b32 s4, -1
                                        ; implicit-def: $vgpr10
	s_branch .LBB19_1567
.LBB19_1563:
	s_mov_b32 s4, -1
                                        ; implicit-def: $vgpr10
.LBB19_1564:
	s_andn2_b32 vcc_lo, exec_lo, s4
	s_cbranch_vccnz .LBB19_1566
; %bb.1565:
	global_load_dword v10, v[8:9], off
.LBB19_1566:
	s_mov_b32 s4, 0
.LBB19_1567:
	s_andn2_b32 vcc_lo, exec_lo, s4
	s_cbranch_vccnz .LBB19_1569
; %bb.1568:
	global_load_dword v1, v[8:9], off
	s_waitcnt vmcnt(0)
	v_cvt_f32_f16_e32 v10, v1
.LBB19_1569:
	s_mov_b32 s4, 0
.LBB19_1570:
	s_andn2_b32 vcc_lo, exec_lo, s4
	s_cbranch_vccnz .LBB19_1581
; %bb.1571:
	s_cmp_lt_i32 s0, 6
	s_cbranch_scc1 .LBB19_1574
; %bb.1572:
	s_cmp_gt_i32 s0, 6
	s_cbranch_scc0 .LBB19_1575
; %bb.1573:
	global_load_dwordx2 v[10:11], v[8:9], off
	s_mov_b32 s4, 0
	s_waitcnt vmcnt(0)
	v_cvt_f32_f64_e32 v10, v[10:11]
	s_branch .LBB19_1576
.LBB19_1574:
	s_mov_b32 s4, -1
                                        ; implicit-def: $vgpr10
	s_branch .LBB19_1579
.LBB19_1575:
	s_mov_b32 s4, -1
                                        ; implicit-def: $vgpr10
.LBB19_1576:
	s_andn2_b32 vcc_lo, exec_lo, s4
	s_cbranch_vccnz .LBB19_1578
; %bb.1577:
	global_load_dword v10, v[8:9], off
.LBB19_1578:
	s_mov_b32 s4, 0
.LBB19_1579:
	s_andn2_b32 vcc_lo, exec_lo, s4
	s_cbranch_vccnz .LBB19_1581
; %bb.1580:
	global_load_ushort v1, v[8:9], off
	s_waitcnt vmcnt(0)
	v_cvt_f32_f16_e32 v10, v1
.LBB19_1581:
	s_mov_b32 s4, 0
.LBB19_1582:
	s_andn2_b32 vcc_lo, exec_lo, s4
	s_cbranch_vccnz .LBB19_1602
; %bb.1583:
	s_cmp_lt_i32 s0, 2
	s_cbranch_scc1 .LBB19_1587
; %bb.1584:
	s_cmp_lt_i32 s0, 3
	s_cbranch_scc1 .LBB19_1588
; %bb.1585:
	s_cmp_gt_i32 s0, 3
	s_cbranch_scc0 .LBB19_1589
; %bb.1586:
	global_load_dwordx2 v[10:11], v[8:9], off
	s_mov_b32 s4, 0
	s_waitcnt vmcnt(0)
	v_xor_b32_e32 v1, v10, v11
	v_ffbh_i32_e32 v12, v11
	v_ashrrev_i32_e32 v1, 31, v1
	v_add_nc_u32_e32 v12, -1, v12
	v_add_nc_u32_e32 v1, 32, v1
	v_min_u32_e32 v1, v12, v1
	v_lshlrev_b64 v[10:11], v1, v[10:11]
	v_sub_nc_u32_e32 v1, 32, v1
	v_min_u32_e32 v10, 1, v10
	v_or_b32_e32 v10, v11, v10
	v_cvt_f32_i32_e32 v10, v10
	v_ldexp_f32 v10, v10, v1
	s_branch .LBB19_1590
.LBB19_1587:
	s_mov_b32 s4, -1
                                        ; implicit-def: $vgpr10
	s_branch .LBB19_1596
.LBB19_1588:
	s_mov_b32 s4, -1
                                        ; implicit-def: $vgpr10
	s_branch .LBB19_1593
.LBB19_1589:
	s_mov_b32 s4, -1
                                        ; implicit-def: $vgpr10
.LBB19_1590:
	s_andn2_b32 vcc_lo, exec_lo, s4
	s_cbranch_vccnz .LBB19_1592
; %bb.1591:
	global_load_dword v1, v[8:9], off
	s_waitcnt vmcnt(0)
	v_cvt_f32_i32_e32 v10, v1
.LBB19_1592:
	s_mov_b32 s4, 0
.LBB19_1593:
	s_andn2_b32 vcc_lo, exec_lo, s4
	s_cbranch_vccnz .LBB19_1595
; %bb.1594:
	global_load_sshort v1, v[8:9], off
	s_waitcnt vmcnt(0)
	v_cvt_f32_i32_e32 v10, v1
.LBB19_1595:
	s_mov_b32 s4, 0
.LBB19_1596:
	s_andn2_b32 vcc_lo, exec_lo, s4
	s_cbranch_vccnz .LBB19_1602
; %bb.1597:
	s_cmp_gt_i32 s0, 0
	s_mov_b32 s0, 0
	s_cbranch_scc0 .LBB19_1599
; %bb.1598:
	global_load_sbyte v1, v[8:9], off
	s_waitcnt vmcnt(0)
	v_cvt_f32_i32_e32 v10, v1
	s_branch .LBB19_1600
.LBB19_1599:
	s_mov_b32 s0, -1
                                        ; implicit-def: $vgpr10
.LBB19_1600:
	s_andn2_b32 vcc_lo, exec_lo, s0
	s_cbranch_vccnz .LBB19_1602
; %bb.1601:
	global_load_ubyte v1, v[8:9], off
	s_waitcnt vmcnt(0)
	v_cvt_f32_ubyte0_e32 v10, v1
.LBB19_1602:
.LBB19_1603:
	s_mov_b32 s4, exec_lo
                                        ; implicit-def: $vgpr1
	s_waitcnt vmcnt(0)
	v_cmpx_ge_f32_e64 0x41000000, |v10|
	s_xor_b32 s4, exec_lo, s4
	s_cbranch_execz .LBB19_1609
; %bb.1604:
	v_fma_f32 v1, |v10|, 0.5, -2.0
	s_mov_b32 s0, 0x224cf950
	v_mul_f32_e64 v11, 0x3fb8aa3b, |v10|
	v_cmp_ngt_f32_e64 vcc_lo, 0xc2ce8ed0, |v10|
	v_fmaak_f32 v8, s0, v1, 0xa3c2be86
	v_cmp_nlt_f32_e64 s0, 0x42b17218, |v10|
	v_rndne_f32_e32 v12, v11
	v_fma_f32 v13, 0x3fb8aa3b, |v10|, -v11
	v_fmaak_f32 v9, v1, v8, 0xa24cf950
	v_sub_f32_e32 v11, v11, v12
	v_fma_f32 v13, 0x32a5705f, |v10|, v13
	v_add_f32_e32 v9, 0x25331f1f, v9
	v_add_f32_e32 v11, v11, v13
	v_fma_f32 v8, v1, v9, -v8
	v_add_f32_e32 v8, 0xa69f5554, v8
	v_fma_f32 v9, v1, v8, -v9
	;; [unrolled: 2-line block ×26, first 2 shown]
	v_exp_f32_e32 v8, v11
	v_cvt_i32_f32_e32 v11, v12
	v_add_f32_e32 v1, 0x3e81531c, v1
	v_sub_f32_e32 v1, v1, v9
	v_ldexp_f32 v8, v8, v11
	v_mul_f32_e32 v1, 0.5, v1
	v_cndmask_b32_e32 v9, 0, v8, vcc_lo
	v_mul_f32_e64 v8, |v10|, v1
	v_cndmask_b32_e64 v9, 0x7f800000, v9, s0
	s_mov_b32 s0, exec_lo
                                        ; implicit-def: $vgpr1
	v_cmpx_ngt_f32_e32 0, v10
	s_xor_b32 s0, exec_lo, s0
; %bb.1605:
	v_mul_f32_e32 v1, v9, v8
                                        ; implicit-def: $vgpr9
                                        ; implicit-def: $vgpr8
; %bb.1606:
	s_andn2_saveexec_b32 s0, s0
; %bb.1607:
	v_mul_f32_e64 v1, v8, -v9
; %bb.1608:
	s_or_b32 exec_lo, exec_lo, s0
                                        ; implicit-def: $vgpr10
.LBB19_1609:
	s_andn2_saveexec_b32 s4, s4
	s_cbranch_execz .LBB19_1615
; %bb.1610:
	v_and_b32_e32 v1, 0x7fffffff, v10
	s_mov_b32 s0, 0x230aab6e
	v_div_scale_f32 v8, null, v1, v1, 0x42000000
	v_div_scale_f32 v1, vcc_lo, 0x42000000, v1, 0x42000000
	v_rcp_f32_e32 v9, v8
	v_fma_f32 v11, -v8, v9, 1.0
	v_fmac_f32_e32 v9, v11, v9
	v_mul_f32_e32 v11, v1, v9
	v_fma_f32 v12, -v8, v11, v1
	v_fmac_f32_e32 v11, v12, v9
	v_fma_f32 v1, -v8, v11, v1
	v_div_fmas_f32 v1, v1, v9, v11
	v_mul_f32_e64 v11, 0x3fb8aa3b, |v10|
	v_cmp_ngt_f32_e64 vcc_lo, 0xc2ce8ed0, |v10|
	v_div_fixup_f32 v1, v1, |v10|, 0x42000000
	v_rndne_f32_e32 v12, v11
	v_fma_f32 v13, 0x3fb8aa3b, |v10|, -v11
	v_add_f32_e32 v1, -2.0, v1
	v_sub_f32_e32 v11, v11, v12
	v_fma_f32 v13, 0x32a5705f, |v10|, v13
	v_cvt_i32_f32_e32 v12, v12
	v_fmaak_f32 v8, s0, v1, 0x22a2dc57
	v_cmp_nlt_f32_e64 s0, 0x42b17218, |v10|
	v_add_f32_e32 v11, v11, v13
	v_fmaak_f32 v9, v1, v8, 0xa30aab6e
	v_exp_f32_e32 v11, v11
	v_add_f32_e32 v9, 0xa456751e, v9
	v_fma_f32 v8, v1, v9, -v8
	v_ldexp_f32 v11, v11, v12
	v_add_f32_e32 v8, 0xa4140365, v8
	v_fma_f32 v9, v1, v8, -v9
	v_add_f32_e32 v9, 0x25aac8b0, v9
	v_fma_f32 v8, v1, v9, -v8
	;; [unrolled: 2-line block ×21, first 2 shown]
	v_cndmask_b32_e32 v8, 0, v11, vcc_lo
	v_add_f32_e32 v1, 0x3f4750c6, v1
	v_cndmask_b32_e64 v8, 0x7f800000, v8, s0
	s_mov_b32 s0, exec_lo
	v_sub_f32_e32 v9, v1, v9
                                        ; implicit-def: $vgpr1
	v_cmpx_ngt_f32_e32 0, v10
	s_xor_b32 s5, exec_lo, s0
	s_cbranch_execz .LBB19_1612
; %bb.1611:
	v_mul_f32_e64 v1, 0x4f800000, |v10|
	v_cmp_gt_f32_e64 vcc_lo, 0xf800000, |v10|
	v_mul_f32_e32 v9, 0.5, v9
	v_cndmask_b32_e64 v1, |v10|, v1, vcc_lo
	v_mul_f32_e32 v8, v8, v9
	v_sqrt_f32_e32 v10, v1
	v_add_nc_u32_e32 v11, -1, v10
	v_add_nc_u32_e32 v12, 1, v10
	v_fma_f32 v13, -v11, v10, v1
	v_fma_f32 v14, -v12, v10, v1
	v_cmp_ge_f32_e64 s0, 0, v13
	v_cndmask_b32_e64 v10, v10, v11, s0
	v_cmp_lt_f32_e64 s0, 0, v14
	v_cndmask_b32_e64 v10, v10, v12, s0
	v_mul_f32_e32 v11, 0x37800000, v10
	v_cndmask_b32_e32 v10, v10, v11, vcc_lo
	v_cmp_class_f32_e64 vcc_lo, v1, 0x260
	v_cndmask_b32_e32 v1, v10, v1, vcc_lo
	v_div_scale_f32 v9, null, v1, v1, v8
	v_rcp_f32_e32 v10, v9
	v_fma_f32 v11, -v9, v10, 1.0
	v_fmac_f32_e32 v10, v11, v10
	v_div_scale_f32 v11, vcc_lo, v8, v1, v8
	v_mul_f32_e32 v12, v11, v10
	v_fma_f32 v13, -v9, v12, v11
	v_fmac_f32_e32 v12, v13, v10
	v_fma_f32 v9, -v9, v12, v11
	v_div_fmas_f32 v9, v9, v10, v12
                                        ; implicit-def: $vgpr10
	v_div_fixup_f32 v1, v9, v1, v8
                                        ; implicit-def: $vgpr9
                                        ; implicit-def: $vgpr8
.LBB19_1612:
	s_andn2_saveexec_b32 s5, s5
	s_cbranch_execz .LBB19_1614
; %bb.1613:
	v_mul_f32_e64 v1, 0x4f800000, |v10|
	v_cmp_gt_f32_e64 vcc_lo, 0xf800000, |v10|
	v_mul_f32_e32 v9, -0.5, v9
	v_cndmask_b32_e64 v1, |v10|, v1, vcc_lo
	v_mul_f32_e32 v8, v8, v9
	v_sqrt_f32_e32 v10, v1
	v_add_nc_u32_e32 v11, -1, v10
	v_add_nc_u32_e32 v12, 1, v10
	v_fma_f32 v13, -v11, v10, v1
	v_fma_f32 v14, -v12, v10, v1
	v_cmp_ge_f32_e64 s0, 0, v13
	v_cndmask_b32_e64 v10, v10, v11, s0
	v_cmp_lt_f32_e64 s0, 0, v14
	v_cndmask_b32_e64 v10, v10, v12, s0
	v_mul_f32_e32 v11, 0x37800000, v10
	v_cndmask_b32_e32 v10, v10, v11, vcc_lo
	v_cmp_class_f32_e64 vcc_lo, v1, 0x260
	v_cndmask_b32_e32 v1, v10, v1, vcc_lo
	v_div_scale_f32 v9, null, v1, v1, v8
	v_rcp_f32_e32 v10, v9
	v_fma_f32 v11, -v9, v10, 1.0
	v_fmac_f32_e32 v10, v11, v10
	v_div_scale_f32 v11, vcc_lo, v8, v1, v8
	v_mul_f32_e32 v12, v11, v10
	v_fma_f32 v13, -v9, v12, v11
	v_fmac_f32_e32 v12, v13, v10
	v_fma_f32 v9, -v9, v12, v11
	v_div_fmas_f32 v9, v9, v10, v12
	v_div_fixup_f32 v1, v9, v1, v8
.LBB19_1614:
	s_or_b32 exec_lo, exec_lo, s5
.LBB19_1615:
	s_or_b32 exec_lo, exec_lo, s4
	v_add_co_u32 v7, s0, s10, v7
	v_add_co_ci_u32_e64 v8, null, s11, 0, s0
	s_cmp_lt_i32 s3, 11
	s_cbranch_scc1 .LBB19_1622
; %bb.1616:
	s_and_b32 s0, 0xffff, s3
	s_mov_b32 s5, 0
	s_cmp_gt_i32 s0, 25
	s_cbranch_scc0 .LBB19_1623
; %bb.1617:
	s_cmp_gt_i32 s0, 28
	s_cbranch_scc0 .LBB19_1624
; %bb.1618:
	s_cmp_gt_i32 s0, 43
	s_cbranch_scc0 .LBB19_1625
; %bb.1619:
	s_cmp_gt_i32 s0, 45
	s_cbranch_scc0 .LBB19_1627
; %bb.1620:
	s_cmp_eq_u32 s0, 46
	s_mov_b32 s7, 0
	s_cbranch_scc0 .LBB19_1628
; %bb.1621:
	global_load_dword v9, v[7:8], off
	s_mov_b32 s4, 0
	s_mov_b32 s6, -1
	s_waitcnt vmcnt(0)
	v_lshlrev_b32_e32 v9, 16, v9
	s_branch .LBB19_1630
.LBB19_1622:
	s_mov_b32 s0, -1
	s_mov_b32 s6, 0
                                        ; implicit-def: $vgpr9
	s_branch .LBB19_1696
.LBB19_1623:
	s_mov_b32 s7, -1
	s_mov_b32 s6, 0
	s_mov_b32 s4, 0
                                        ; implicit-def: $vgpr9
	s_branch .LBB19_1659
.LBB19_1624:
	s_mov_b32 s7, -1
	s_mov_b32 s6, 0
	s_mov_b32 s4, 0
                                        ; implicit-def: $vgpr9
	s_branch .LBB19_1640
.LBB19_1625:
	s_mov_b32 s7, -1
	s_mov_b32 s6, 0
	s_mov_b32 s4, 0
                                        ; implicit-def: $vgpr9
	s_branch .LBB19_1635
.LBB19_1626:
	s_or_b32 s1, s1, exec_lo
	s_trap 2
	s_cbranch_execz .LBB19_1553
	s_branch .LBB19_1554
.LBB19_1627:
	s_mov_b32 s7, -1
	s_mov_b32 s6, 0
	s_mov_b32 s4, 0
	s_branch .LBB19_1629
.LBB19_1628:
	s_mov_b32 s4, -1
	s_mov_b32 s6, 0
.LBB19_1629:
                                        ; implicit-def: $vgpr9
.LBB19_1630:
	s_and_b32 vcc_lo, exec_lo, s7
	s_cbranch_vccz .LBB19_1634
; %bb.1631:
	s_cmp_eq_u32 s0, 44
	s_cbranch_scc0 .LBB19_1633
; %bb.1632:
	global_load_ubyte v9, v[7:8], off
	s_mov_b32 s4, 0
	s_mov_b32 s6, -1
	s_waitcnt vmcnt(0)
	v_lshlrev_b32_e32 v10, 23, v9
	v_cmp_ne_u32_e32 vcc_lo, 0xff, v9
	v_cndmask_b32_e32 v10, 0x7f800001, v10, vcc_lo
	v_cmp_ne_u32_e32 vcc_lo, 0, v9
	v_cndmask_b32_e32 v9, 0x400000, v10, vcc_lo
	s_branch .LBB19_1634
.LBB19_1633:
	s_mov_b32 s4, -1
                                        ; implicit-def: $vgpr9
.LBB19_1634:
	s_mov_b32 s7, 0
.LBB19_1635:
	s_and_b32 vcc_lo, exec_lo, s7
	s_cbranch_vccz .LBB19_1639
; %bb.1636:
	s_cmp_eq_u32 s0, 29
	s_cbranch_scc0 .LBB19_1638
; %bb.1637:
	global_load_dwordx2 v[9:10], v[7:8], off
	s_mov_b32 s4, 0
	s_mov_b32 s6, -1
	s_mov_b32 s7, 0
	s_waitcnt vmcnt(0)
	v_ffbh_u32_e32 v11, v10
	v_min_u32_e32 v11, 32, v11
	v_lshlrev_b64 v[9:10], v11, v[9:10]
	v_min_u32_e32 v9, 1, v9
	v_or_b32_e32 v9, v10, v9
	v_sub_nc_u32_e32 v10, 32, v11
	v_cvt_f32_u32_e32 v9, v9
	v_ldexp_f32 v9, v9, v10
	s_branch .LBB19_1640
.LBB19_1638:
	s_mov_b32 s4, -1
                                        ; implicit-def: $vgpr9
.LBB19_1639:
	s_mov_b32 s7, 0
.LBB19_1640:
	s_and_b32 vcc_lo, exec_lo, s7
	s_cbranch_vccz .LBB19_1658
; %bb.1641:
	s_cmp_lt_i32 s0, 27
	s_cbranch_scc1 .LBB19_1644
; %bb.1642:
	s_cmp_gt_i32 s0, 27
	s_cbranch_scc0 .LBB19_1645
; %bb.1643:
	global_load_dword v9, v[7:8], off
	s_mov_b32 s6, 0
	s_waitcnt vmcnt(0)
	v_cvt_f32_u32_e32 v9, v9
	s_branch .LBB19_1646
.LBB19_1644:
	s_mov_b32 s6, -1
                                        ; implicit-def: $vgpr9
	s_branch .LBB19_1649
.LBB19_1645:
	s_mov_b32 s6, -1
                                        ; implicit-def: $vgpr9
.LBB19_1646:
	s_andn2_b32 vcc_lo, exec_lo, s6
	s_cbranch_vccnz .LBB19_1648
; %bb.1647:
	global_load_ushort v9, v[7:8], off
	s_waitcnt vmcnt(0)
	v_cvt_f32_u32_e32 v9, v9
.LBB19_1648:
	s_mov_b32 s6, 0
.LBB19_1649:
	s_andn2_b32 vcc_lo, exec_lo, s6
	s_cbranch_vccnz .LBB19_1657
; %bb.1650:
	global_load_ubyte v10, v[7:8], off
	s_mov_b32 s6, 0
	s_mov_b32 s7, exec_lo
	s_waitcnt vmcnt(0)
	v_cmpx_lt_i16_e32 0x7f, v10
	s_xor_b32 s7, exec_lo, s7
	s_cbranch_execz .LBB19_1671
; %bb.1651:
	s_mov_b32 s6, -1
	s_mov_b32 s10, exec_lo
	v_cmpx_eq_u16_e32 0x80, v10
; %bb.1652:
	s_xor_b32 s6, exec_lo, -1
; %bb.1653:
	s_or_b32 exec_lo, exec_lo, s10
	s_and_b32 s6, s6, exec_lo
	s_or_saveexec_b32 s7, s7
	v_mov_b32_e32 v9, 0x7f800001
	s_xor_b32 exec_lo, exec_lo, s7
	s_cbranch_execnz .LBB19_1672
.LBB19_1654:
	s_or_b32 exec_lo, exec_lo, s7
	s_and_saveexec_b32 s7, s6
	s_cbranch_execz .LBB19_1656
.LBB19_1655:
	v_and_b32_e32 v9, 0xffff, v10
	v_lshlrev_b32_e32 v10, 24, v10
	v_and_b32_e32 v11, 7, v9
	v_bfe_u32 v14, v9, 3, 4
	v_and_b32_e32 v10, 0x80000000, v10
	v_ffbh_u32_e32 v12, v11
	v_cmp_eq_u32_e32 vcc_lo, 0, v14
	v_min_u32_e32 v12, 32, v12
	v_subrev_nc_u32_e32 v13, 28, v12
	v_sub_nc_u32_e32 v12, 29, v12
	v_lshlrev_b32_e32 v9, v13, v9
	v_cndmask_b32_e32 v12, v14, v12, vcc_lo
	v_and_b32_e32 v9, 7, v9
	v_cndmask_b32_e32 v9, v11, v9, vcc_lo
	v_lshl_add_u32 v11, v12, 23, 0x3b800000
	v_lshlrev_b32_e32 v9, 20, v9
	v_or3_b32 v9, v10, v11, v9
.LBB19_1656:
	s_or_b32 exec_lo, exec_lo, s7
.LBB19_1657:
	s_mov_b32 s6, -1
.LBB19_1658:
	s_mov_b32 s7, 0
.LBB19_1659:
	s_and_b32 vcc_lo, exec_lo, s7
	s_cbranch_vccz .LBB19_1692
; %bb.1660:
	s_cmp_gt_i32 s0, 22
	s_cbranch_scc0 .LBB19_1670
; %bb.1661:
	s_cmp_lt_i32 s0, 24
	s_cbranch_scc1 .LBB19_1673
; %bb.1662:
	s_cmp_gt_i32 s0, 24
	s_cbranch_scc0 .LBB19_1674
; %bb.1663:
	global_load_ubyte v10, v[7:8], off
	s_mov_b32 s6, exec_lo
	s_waitcnt vmcnt(0)
	v_cmpx_lt_i16_e32 0x7f, v10
	s_xor_b32 s6, exec_lo, s6
	s_cbranch_execz .LBB19_1686
; %bb.1664:
	s_mov_b32 s5, -1
	s_mov_b32 s7, exec_lo
	v_cmpx_eq_u16_e32 0x80, v10
; %bb.1665:
	s_xor_b32 s5, exec_lo, -1
; %bb.1666:
	s_or_b32 exec_lo, exec_lo, s7
	s_and_b32 s5, s5, exec_lo
	s_or_saveexec_b32 s6, s6
	v_mov_b32_e32 v9, 0x7f800001
	s_xor_b32 exec_lo, exec_lo, s6
	s_cbranch_execnz .LBB19_1687
.LBB19_1667:
	s_or_b32 exec_lo, exec_lo, s6
	s_and_saveexec_b32 s6, s5
	s_cbranch_execz .LBB19_1669
.LBB19_1668:
	v_and_b32_e32 v9, 0xffff, v10
	v_lshlrev_b32_e32 v10, 24, v10
	v_and_b32_e32 v11, 3, v9
	v_bfe_u32 v14, v9, 2, 5
	v_and_b32_e32 v10, 0x80000000, v10
	v_ffbh_u32_e32 v12, v11
	v_cmp_eq_u32_e32 vcc_lo, 0, v14
	v_min_u32_e32 v12, 32, v12
	v_subrev_nc_u32_e32 v13, 29, v12
	v_sub_nc_u32_e32 v12, 30, v12
	v_lshlrev_b32_e32 v9, v13, v9
	v_cndmask_b32_e32 v12, v14, v12, vcc_lo
	v_and_b32_e32 v9, 3, v9
	v_cndmask_b32_e32 v9, v11, v9, vcc_lo
	v_lshl_add_u32 v11, v12, 23, 0x37800000
	v_lshlrev_b32_e32 v9, 21, v9
	v_or3_b32 v9, v10, v11, v9
.LBB19_1669:
	s_or_b32 exec_lo, exec_lo, s6
	s_mov_b32 s5, 0
	s_branch .LBB19_1675
.LBB19_1670:
	s_mov_b32 s5, -1
                                        ; implicit-def: $vgpr9
	s_branch .LBB19_1681
.LBB19_1671:
	s_or_saveexec_b32 s7, s7
	v_mov_b32_e32 v9, 0x7f800001
	s_xor_b32 exec_lo, exec_lo, s7
	s_cbranch_execz .LBB19_1654
.LBB19_1672:
	v_cmp_ne_u16_e32 vcc_lo, 0, v10
	v_mov_b32_e32 v9, 0
	s_andn2_b32 s6, s6, exec_lo
	s_and_b32 s10, vcc_lo, exec_lo
	s_or_b32 s6, s6, s10
	s_or_b32 exec_lo, exec_lo, s7
	s_and_saveexec_b32 s7, s6
	s_cbranch_execnz .LBB19_1655
	s_branch .LBB19_1656
.LBB19_1673:
	s_mov_b32 s5, -1
                                        ; implicit-def: $vgpr9
	s_branch .LBB19_1678
.LBB19_1674:
	s_mov_b32 s5, -1
                                        ; implicit-def: $vgpr9
.LBB19_1675:
	s_and_b32 vcc_lo, exec_lo, s5
	s_cbranch_vccz .LBB19_1677
; %bb.1676:
	global_load_ubyte v9, v[7:8], off
	s_waitcnt vmcnt(0)
	v_lshlrev_b32_e32 v9, 24, v9
	v_and_b32_e32 v10, 0x7f000000, v9
	v_ffbh_u32_e32 v11, v10
	v_add_nc_u32_e32 v13, 0x1000000, v10
	v_cmp_ne_u32_e32 vcc_lo, 0, v10
	v_min_u32_e32 v11, 32, v11
	v_sub_nc_u32_e64 v11, v11, 4 clamp
	v_lshlrev_b32_e32 v12, v11, v10
	v_lshlrev_b32_e32 v11, 23, v11
	v_lshrrev_b32_e32 v12, 4, v12
	v_sub_nc_u32_e32 v11, v12, v11
	v_ashrrev_i32_e32 v12, 8, v13
	v_add_nc_u32_e32 v11, 0x3c000000, v11
	v_and_or_b32 v11, 0x7f800000, v12, v11
	v_cndmask_b32_e32 v10, 0, v11, vcc_lo
	v_and_or_b32 v9, 0x80000000, v9, v10
.LBB19_1677:
	s_mov_b32 s5, 0
.LBB19_1678:
	s_andn2_b32 vcc_lo, exec_lo, s5
	s_cbranch_vccnz .LBB19_1680
; %bb.1679:
	global_load_ubyte v9, v[7:8], off
	s_waitcnt vmcnt(0)
	v_lshlrev_b32_e32 v10, 25, v9
	v_lshlrev_b16 v9, 8, v9
	v_lshrrev_b32_e32 v11, 4, v10
	v_and_or_b32 v12, 0x7f00, v9, 0.5
	v_cmp_gt_u32_e32 vcc_lo, 0x8000000, v10
	v_bfe_i32 v9, v9, 0, 16
	v_or_b32_e32 v11, 0x70000000, v11
	v_add_f32_e32 v12, -0.5, v12
	v_mul_f32_e32 v11, 0x7800000, v11
	v_cndmask_b32_e32 v10, v11, v12, vcc_lo
	v_and_or_b32 v9, 0x80000000, v9, v10
.LBB19_1680:
	s_mov_b32 s5, 0
	s_mov_b32 s6, -1
.LBB19_1681:
	s_andn2_b32 vcc_lo, exec_lo, s5
	s_mov_b32 s5, 0
	s_cbranch_vccnz .LBB19_1692
; %bb.1682:
	s_cmp_gt_i32 s0, 14
	s_cbranch_scc0 .LBB19_1685
; %bb.1683:
	s_cmp_eq_u32 s0, 15
	s_cbranch_scc0 .LBB19_1688
; %bb.1684:
	global_load_ushort v9, v[7:8], off
	s_mov_b32 s4, 0
	s_mov_b32 s6, -1
	s_waitcnt vmcnt(0)
	v_lshlrev_b32_e32 v9, 16, v9
	s_branch .LBB19_1690
.LBB19_1685:
	s_mov_b32 s5, -1
	s_branch .LBB19_1689
.LBB19_1686:
	s_or_saveexec_b32 s6, s6
	v_mov_b32_e32 v9, 0x7f800001
	s_xor_b32 exec_lo, exec_lo, s6
	s_cbranch_execz .LBB19_1667
.LBB19_1687:
	v_cmp_ne_u16_e32 vcc_lo, 0, v10
	v_mov_b32_e32 v9, 0
	s_andn2_b32 s5, s5, exec_lo
	s_and_b32 s7, vcc_lo, exec_lo
	s_or_b32 s5, s5, s7
	s_or_b32 exec_lo, exec_lo, s6
	s_and_saveexec_b32 s6, s5
	s_cbranch_execnz .LBB19_1668
	s_branch .LBB19_1669
.LBB19_1688:
	s_mov_b32 s4, -1
.LBB19_1689:
                                        ; implicit-def: $vgpr9
.LBB19_1690:
	s_and_b32 vcc_lo, exec_lo, s5
	s_mov_b32 s5, 0
	s_cbranch_vccz .LBB19_1692
; %bb.1691:
	s_cmp_lg_u32 s0, 11
	s_mov_b32 s5, -1
	s_cselect_b32 s4, -1, 0
.LBB19_1692:
	s_and_b32 vcc_lo, exec_lo, s4
	s_cbranch_vccnz .LBB19_2238
; %bb.1693:
	s_andn2_b32 vcc_lo, exec_lo, s5
	s_cbranch_vccnz .LBB19_1695
.LBB19_1694:
	global_load_ubyte v9, v[7:8], off
	s_mov_b32 s6, -1
	s_waitcnt vmcnt(0)
	v_cmp_ne_u16_e32 vcc_lo, 0, v9
	v_cndmask_b32_e64 v9, 0, 1.0, vcc_lo
.LBB19_1695:
	s_mov_b32 s0, 0
.LBB19_1696:
	s_and_b32 vcc_lo, exec_lo, s0
	s_cbranch_vccz .LBB19_1745
; %bb.1697:
	s_and_b32 s0, 0xffff, s3
	s_cmp_lt_i32 s0, 5
	s_cbranch_scc1 .LBB19_1702
; %bb.1698:
	s_cmp_lt_i32 s0, 8
	s_cbranch_scc1 .LBB19_1703
; %bb.1699:
	;; [unrolled: 3-line block ×3, first 2 shown]
	s_cmp_gt_i32 s0, 9
	s_cbranch_scc0 .LBB19_1705
; %bb.1701:
	global_load_dwordx2 v[9:10], v[7:8], off
	s_mov_b32 s3, 0
	s_waitcnt vmcnt(0)
	v_cvt_f32_f64_e32 v9, v[9:10]
	s_branch .LBB19_1706
.LBB19_1702:
	s_mov_b32 s3, -1
                                        ; implicit-def: $vgpr9
	s_branch .LBB19_1724
.LBB19_1703:
	s_mov_b32 s3, -1
                                        ; implicit-def: $vgpr9
	s_branch .LBB19_1712
.LBB19_1704:
	s_mov_b32 s3, -1
                                        ; implicit-def: $vgpr9
	s_branch .LBB19_1709
.LBB19_1705:
	s_mov_b32 s3, -1
                                        ; implicit-def: $vgpr9
.LBB19_1706:
	s_andn2_b32 vcc_lo, exec_lo, s3
	s_cbranch_vccnz .LBB19_1708
; %bb.1707:
	global_load_dword v9, v[7:8], off
.LBB19_1708:
	s_mov_b32 s3, 0
.LBB19_1709:
	s_andn2_b32 vcc_lo, exec_lo, s3
	s_cbranch_vccnz .LBB19_1711
; %bb.1710:
	global_load_dword v9, v[7:8], off
	s_waitcnt vmcnt(0)
	v_cvt_f32_f16_e32 v9, v9
.LBB19_1711:
	s_mov_b32 s3, 0
.LBB19_1712:
	s_andn2_b32 vcc_lo, exec_lo, s3
	s_cbranch_vccnz .LBB19_1723
; %bb.1713:
	s_cmp_lt_i32 s0, 6
	s_cbranch_scc1 .LBB19_1716
; %bb.1714:
	s_cmp_gt_i32 s0, 6
	s_cbranch_scc0 .LBB19_1717
; %bb.1715:
	global_load_dwordx2 v[9:10], v[7:8], off
	s_mov_b32 s3, 0
	s_waitcnt vmcnt(0)
	v_cvt_f32_f64_e32 v9, v[9:10]
	s_branch .LBB19_1718
.LBB19_1716:
	s_mov_b32 s3, -1
                                        ; implicit-def: $vgpr9
	s_branch .LBB19_1721
.LBB19_1717:
	s_mov_b32 s3, -1
                                        ; implicit-def: $vgpr9
.LBB19_1718:
	s_andn2_b32 vcc_lo, exec_lo, s3
	s_cbranch_vccnz .LBB19_1720
; %bb.1719:
	global_load_dword v9, v[7:8], off
.LBB19_1720:
	s_mov_b32 s3, 0
.LBB19_1721:
	s_andn2_b32 vcc_lo, exec_lo, s3
	s_cbranch_vccnz .LBB19_1723
; %bb.1722:
	global_load_ushort v9, v[7:8], off
	s_waitcnt vmcnt(0)
	v_cvt_f32_f16_e32 v9, v9
.LBB19_1723:
	s_mov_b32 s3, 0
.LBB19_1724:
	s_andn2_b32 vcc_lo, exec_lo, s3
	s_cbranch_vccnz .LBB19_1744
; %bb.1725:
	s_cmp_lt_i32 s0, 2
	s_cbranch_scc1 .LBB19_1729
; %bb.1726:
	s_cmp_lt_i32 s0, 3
	s_cbranch_scc1 .LBB19_1730
; %bb.1727:
	s_cmp_gt_i32 s0, 3
	s_cbranch_scc0 .LBB19_1731
; %bb.1728:
	global_load_dwordx2 v[9:10], v[7:8], off
	s_mov_b32 s3, 0
	s_waitcnt vmcnt(0)
	v_xor_b32_e32 v11, v9, v10
	v_ffbh_i32_e32 v12, v10
	v_ashrrev_i32_e32 v11, 31, v11
	v_add_nc_u32_e32 v12, -1, v12
	v_add_nc_u32_e32 v11, 32, v11
	v_min_u32_e32 v11, v12, v11
	v_lshlrev_b64 v[9:10], v11, v[9:10]
	v_min_u32_e32 v9, 1, v9
	v_or_b32_e32 v9, v10, v9
	v_sub_nc_u32_e32 v10, 32, v11
	v_cvt_f32_i32_e32 v9, v9
	v_ldexp_f32 v9, v9, v10
	s_branch .LBB19_1732
.LBB19_1729:
	s_mov_b32 s3, -1
                                        ; implicit-def: $vgpr9
	s_branch .LBB19_1738
.LBB19_1730:
	s_mov_b32 s3, -1
                                        ; implicit-def: $vgpr9
	s_branch .LBB19_1735
.LBB19_1731:
	s_mov_b32 s3, -1
                                        ; implicit-def: $vgpr9
.LBB19_1732:
	s_andn2_b32 vcc_lo, exec_lo, s3
	s_cbranch_vccnz .LBB19_1734
; %bb.1733:
	global_load_dword v9, v[7:8], off
	s_waitcnt vmcnt(0)
	v_cvt_f32_i32_e32 v9, v9
.LBB19_1734:
	s_mov_b32 s3, 0
.LBB19_1735:
	s_andn2_b32 vcc_lo, exec_lo, s3
	s_cbranch_vccnz .LBB19_1737
; %bb.1736:
	global_load_sshort v9, v[7:8], off
	s_waitcnt vmcnt(0)
	v_cvt_f32_i32_e32 v9, v9
.LBB19_1737:
	s_mov_b32 s3, 0
.LBB19_1738:
	s_andn2_b32 vcc_lo, exec_lo, s3
	s_cbranch_vccnz .LBB19_1744
; %bb.1739:
	s_cmp_gt_i32 s0, 0
	s_mov_b32 s0, 0
	s_cbranch_scc0 .LBB19_1741
; %bb.1740:
	global_load_sbyte v9, v[7:8], off
	s_waitcnt vmcnt(0)
	v_cvt_f32_i32_e32 v9, v9
	s_branch .LBB19_1742
.LBB19_1741:
	s_mov_b32 s0, -1
                                        ; implicit-def: $vgpr9
.LBB19_1742:
	s_andn2_b32 vcc_lo, exec_lo, s0
	s_cbranch_vccnz .LBB19_1744
; %bb.1743:
	global_load_ubyte v7, v[7:8], off
	s_waitcnt vmcnt(0)
	v_cvt_f32_ubyte0_e32 v9, v7
.LBB19_1744:
	s_mov_b32 s6, -1
.LBB19_1745:
	s_andn2_b32 vcc_lo, exec_lo, s6
	s_cbranch_vccnz .LBB19_1836
; %bb.1746:
	s_mov_b32 s3, exec_lo
                                        ; implicit-def: $vgpr7
	s_waitcnt vmcnt(0)
	v_cmpx_ge_f32_e64 0x41000000, |v9|
	s_xor_b32 s3, exec_lo, s3
	s_cbranch_execz .LBB19_1752
; %bb.1747:
	v_fma_f32 v7, |v9|, 0.5, -2.0
	s_mov_b32 s0, 0x224cf950
	v_mul_f32_e64 v11, 0x3fb8aa3b, |v9|
	v_cmp_ngt_f32_e64 vcc_lo, 0xc2ce8ed0, |v9|
	v_fmaak_f32 v8, s0, v7, 0xa3c2be86
	v_cmp_nlt_f32_e64 s0, 0x42b17218, |v9|
	v_rndne_f32_e32 v12, v11
	v_fma_f32 v13, 0x3fb8aa3b, |v9|, -v11
	v_fmaak_f32 v10, v7, v8, 0xa24cf950
	v_sub_f32_e32 v11, v11, v12
	v_fma_f32 v13, 0x32a5705f, |v9|, v13
	v_add_f32_e32 v10, 0x25331f1f, v10
	v_add_f32_e32 v11, v11, v13
	v_fma_f32 v8, v7, v10, -v8
	v_add_f32_e32 v8, 0xa69f5554, v8
	v_fma_f32 v10, v7, v8, -v10
	;; [unrolled: 2-line block ×26, first 2 shown]
	v_exp_f32_e32 v8, v11
	v_cvt_i32_f32_e32 v11, v12
	v_add_f32_e32 v7, 0x3e81531c, v7
	v_sub_f32_e32 v7, v7, v10
	v_ldexp_f32 v8, v8, v11
	v_mul_f32_e32 v7, 0.5, v7
	v_cndmask_b32_e32 v10, 0, v8, vcc_lo
	v_cmp_ngt_f32_e32 vcc_lo, 0, v9
	v_mul_f32_e64 v8, |v9|, v7
	v_cndmask_b32_e64 v9, 0x7f800000, v10, s0
                                        ; implicit-def: $vgpr7
	s_and_saveexec_b32 s0, vcc_lo
	s_xor_b32 s0, exec_lo, s0
; %bb.1748:
	v_mul_f32_e32 v7, v9, v8
                                        ; implicit-def: $vgpr9
                                        ; implicit-def: $vgpr8
; %bb.1749:
	s_andn2_saveexec_b32 s0, s0
; %bb.1750:
	v_mul_f32_e64 v7, v8, -v9
; %bb.1751:
	s_or_b32 exec_lo, exec_lo, s0
                                        ; implicit-def: $vgpr9
.LBB19_1752:
	s_andn2_saveexec_b32 s3, s3
	s_cbranch_execz .LBB19_1758
; %bb.1753:
	v_and_b32_e32 v7, 0x7fffffff, v9
	s_mov_b32 s0, 0x230aab6e
	v_div_scale_f32 v8, null, v7, v7, 0x42000000
	v_div_scale_f32 v7, vcc_lo, 0x42000000, v7, 0x42000000
	v_rcp_f32_e32 v10, v8
	v_fma_f32 v11, -v8, v10, 1.0
	v_fmac_f32_e32 v10, v11, v10
	v_mul_f32_e32 v11, v7, v10
	v_fma_f32 v12, -v8, v11, v7
	v_fmac_f32_e32 v11, v12, v10
	v_fma_f32 v7, -v8, v11, v7
	v_div_fmas_f32 v7, v7, v10, v11
	v_mul_f32_e64 v11, 0x3fb8aa3b, |v9|
	v_cmp_ngt_f32_e64 vcc_lo, 0xc2ce8ed0, |v9|
	v_div_fixup_f32 v7, v7, |v9|, 0x42000000
	v_rndne_f32_e32 v12, v11
	v_fma_f32 v13, 0x3fb8aa3b, |v9|, -v11
	v_add_f32_e32 v7, -2.0, v7
	v_sub_f32_e32 v11, v11, v12
	v_fma_f32 v13, 0x32a5705f, |v9|, v13
	v_cvt_i32_f32_e32 v12, v12
	v_fmaak_f32 v8, s0, v7, 0x22a2dc57
	v_cmp_nlt_f32_e64 s0, 0x42b17218, |v9|
	v_add_f32_e32 v11, v11, v13
	v_fmaak_f32 v10, v7, v8, 0xa30aab6e
	v_exp_f32_e32 v11, v11
	v_add_f32_e32 v10, 0xa456751e, v10
	v_fma_f32 v8, v7, v10, -v8
	v_ldexp_f32 v11, v11, v12
	v_add_f32_e32 v8, 0xa4140365, v8
	v_fma_f32 v10, v7, v8, -v10
	v_add_f32_e32 v10, 0x25aac8b0, v10
	v_fma_f32 v8, v7, v10, -v8
	;; [unrolled: 2-line block ×21, first 2 shown]
	v_cndmask_b32_e32 v8, 0, v11, vcc_lo
	v_add_f32_e32 v7, 0x3f4750c6, v7
	v_cndmask_b32_e64 v8, 0x7f800000, v8, s0
	s_mov_b32 s0, exec_lo
	v_sub_f32_e32 v10, v7, v10
                                        ; implicit-def: $vgpr7
	v_cmpx_ngt_f32_e32 0, v9
	s_xor_b32 s4, exec_lo, s0
	s_cbranch_execz .LBB19_1755
; %bb.1754:
	v_mul_f32_e64 v7, 0x4f800000, |v9|
	v_cmp_gt_f32_e64 vcc_lo, 0xf800000, |v9|
	v_mul_f32_e32 v10, 0.5, v10
	v_cndmask_b32_e64 v7, |v9|, v7, vcc_lo
	v_mul_f32_e32 v8, v8, v10
	v_sqrt_f32_e32 v9, v7
	v_add_nc_u32_e32 v11, -1, v9
	v_add_nc_u32_e32 v12, 1, v9
	v_fma_f32 v13, -v11, v9, v7
	v_fma_f32 v14, -v12, v9, v7
	v_cmp_ge_f32_e64 s0, 0, v13
	v_cndmask_b32_e64 v9, v9, v11, s0
	v_cmp_lt_f32_e64 s0, 0, v14
	v_cndmask_b32_e64 v9, v9, v12, s0
	v_mul_f32_e32 v11, 0x37800000, v9
	v_cndmask_b32_e32 v9, v9, v11, vcc_lo
	v_cmp_class_f32_e64 vcc_lo, v7, 0x260
	v_cndmask_b32_e32 v7, v9, v7, vcc_lo
	v_div_scale_f32 v9, null, v7, v7, v8
	v_rcp_f32_e32 v10, v9
	v_fma_f32 v11, -v9, v10, 1.0
	v_fmac_f32_e32 v10, v11, v10
	v_div_scale_f32 v11, vcc_lo, v8, v7, v8
	v_mul_f32_e32 v12, v11, v10
	v_fma_f32 v13, -v9, v12, v11
	v_fmac_f32_e32 v12, v13, v10
	v_fma_f32 v9, -v9, v12, v11
	v_div_fmas_f32 v9, v9, v10, v12
                                        ; implicit-def: $vgpr10
	v_div_fixup_f32 v7, v9, v7, v8
                                        ; implicit-def: $vgpr9
                                        ; implicit-def: $vgpr8
.LBB19_1755:
	s_andn2_saveexec_b32 s4, s4
	s_cbranch_execz .LBB19_1757
; %bb.1756:
	v_mul_f32_e64 v7, 0x4f800000, |v9|
	v_cmp_gt_f32_e64 vcc_lo, 0xf800000, |v9|
	v_mul_f32_e32 v10, -0.5, v10
	v_cndmask_b32_e64 v7, |v9|, v7, vcc_lo
	v_mul_f32_e32 v8, v8, v10
	v_sqrt_f32_e32 v9, v7
	v_add_nc_u32_e32 v11, -1, v9
	v_add_nc_u32_e32 v12, 1, v9
	v_fma_f32 v13, -v11, v9, v7
	v_fma_f32 v14, -v12, v9, v7
	v_cmp_ge_f32_e64 s0, 0, v13
	v_cndmask_b32_e64 v9, v9, v11, s0
	v_cmp_lt_f32_e64 s0, 0, v14
	v_cndmask_b32_e64 v9, v9, v12, s0
	v_mul_f32_e32 v11, 0x37800000, v9
	v_cndmask_b32_e32 v9, v9, v11, vcc_lo
	v_cmp_class_f32_e64 vcc_lo, v7, 0x260
	v_cndmask_b32_e32 v7, v9, v7, vcc_lo
	v_div_scale_f32 v9, null, v7, v7, v8
	v_rcp_f32_e32 v10, v9
	v_fma_f32 v11, -v9, v10, 1.0
	v_fmac_f32_e32 v10, v11, v10
	v_div_scale_f32 v11, vcc_lo, v8, v7, v8
	v_mul_f32_e32 v12, v11, v10
	v_fma_f32 v13, -v9, v12, v11
	v_fmac_f32_e32 v12, v13, v10
	v_fma_f32 v9, -v9, v12, v11
	v_div_fmas_f32 v9, v9, v10, v12
	v_div_fixup_f32 v7, v9, v7, v8
.LBB19_1757:
	s_or_b32 exec_lo, exec_lo, s4
.LBB19_1758:
	s_or_b32 exec_lo, exec_lo, s3
	v_add_co_u32 v8, s0, s8, v6
	v_add_co_ci_u32_e64 v9, null, s9, 0, s0
	s_bfe_u32 s3, s2, 0x80008
	s_cmp_lt_i32 s3, 11
	s_cbranch_scc1 .LBB19_1881
; %bb.1759:
	s_and_b32 s4, 0xffff, s3
	s_mov_b32 s7, -1
	s_mov_b32 s5, 0
	s_cmp_gt_i32 s4, 25
	s_mov_b32 s6, 0
	s_mov_b32 s0, 0
	s_cbranch_scc0 .LBB19_1792
; %bb.1760:
	s_cmp_gt_i32 s4, 28
	s_cbranch_scc0 .LBB19_1775
; %bb.1761:
	s_cmp_gt_i32 s4, 43
	;; [unrolled: 3-line block ×3, first 2 shown]
	s_cbranch_scc0 .LBB19_1765
; %bb.1763:
	s_mov_b32 s0, -1
	s_mov_b32 s7, 0
	s_cmp_eq_u32 s4, 46
	s_cbranch_scc0 .LBB19_1765
; %bb.1764:
	v_bfe_u32 v6, v5, 16, 1
	v_cmp_o_f32_e32 vcc_lo, v5, v5
	v_mov_b32_e32 v10, 0x7fc0
	s_mov_b32 s0, 0
	s_mov_b32 s6, -1
	v_add3_u32 v6, v5, v6, 0x7fff
	v_cndmask_b32_sdwa v6, v10, v6, vcc_lo dst_sel:DWORD dst_unused:UNUSED_PAD src0_sel:DWORD src1_sel:WORD_1
	global_store_dword v[8:9], v6, off
.LBB19_1765:
	s_and_b32 vcc_lo, exec_lo, s7
	s_cbranch_vccz .LBB19_1770
; %bb.1766:
	s_cmp_eq_u32 s4, 44
	s_mov_b32 s0, -1
	s_cbranch_scc0 .LBB19_1770
; %bb.1767:
	v_bfe_u32 v10, v5, 23, 8
	v_mov_b32_e32 v6, 0xff
	s_mov_b32 s6, exec_lo
	v_cmpx_ne_u32_e32 0xff, v10
	s_cbranch_execz .LBB19_1769
; %bb.1768:
	v_and_b32_e32 v6, 0x400000, v5
	v_and_or_b32 v10, 0x3fffff, v5, v10
	v_cmp_ne_u32_e32 vcc_lo, 0, v6
	v_cmp_ne_u32_e64 s0, 0, v10
	v_lshrrev_b32_e32 v6, 23, v5
	s_and_b32 s0, vcc_lo, s0
	v_cndmask_b32_e64 v10, 0, 1, s0
	v_add_nc_u32_e32 v6, v6, v10
.LBB19_1769:
	s_or_b32 exec_lo, exec_lo, s6
	s_mov_b32 s0, 0
	s_mov_b32 s6, -1
	global_store_byte v[8:9], v6, off
.LBB19_1770:
	s_mov_b32 s7, 0
.LBB19_1771:
	s_and_b32 vcc_lo, exec_lo, s7
	s_cbranch_vccz .LBB19_1774
; %bb.1772:
	s_cmp_eq_u32 s4, 29
	s_mov_b32 s0, -1
	s_cbranch_scc0 .LBB19_1774
; %bb.1773:
	v_trunc_f32_e32 v6, v5
	s_mov_b32 s0, 0
	s_mov_b32 s6, -1
	v_mul_f32_e32 v10, 0x2f800000, v6
	v_floor_f32_e32 v10, v10
	v_fmamk_f32 v6, v10, 0xcf800000, v6
	v_cvt_u32_f32_e32 v11, v10
	v_cvt_u32_f32_e32 v10, v6
	global_store_dwordx2 v[8:9], v[10:11], off
.LBB19_1774:
	s_mov_b32 s7, 0
.LBB19_1775:
	s_and_b32 vcc_lo, exec_lo, s7
	s_cbranch_vccz .LBB19_1791
; %bb.1776:
	s_cmp_lt_i32 s4, 27
	s_mov_b32 s6, -1
	s_cbranch_scc1 .LBB19_1782
; %bb.1777:
	v_cvt_u32_f32_e32 v6, v5
	s_cmp_gt_i32 s4, 27
	s_cbranch_scc0 .LBB19_1779
; %bb.1778:
	s_mov_b32 s6, 0
	global_store_dword v[8:9], v6, off
.LBB19_1779:
	s_andn2_b32 vcc_lo, exec_lo, s6
	s_cbranch_vccnz .LBB19_1781
; %bb.1780:
	global_store_short v[8:9], v6, off
.LBB19_1781:
	s_mov_b32 s6, 0
.LBB19_1782:
	s_andn2_b32 vcc_lo, exec_lo, s6
	s_cbranch_vccnz .LBB19_1790
; %bb.1783:
	v_and_b32_e32 v6, 0x7fffffff, v5
	v_mov_b32_e32 v10, 0x80
	s_mov_b32 s6, exec_lo
	v_cmpx_gt_u32_e32 0x43800000, v6
	s_cbranch_execz .LBB19_1789
; %bb.1784:
	v_cmp_lt_u32_e32 vcc_lo, 0x3bffffff, v6
	s_mov_b32 s7, 0
                                        ; implicit-def: $vgpr6
	s_and_saveexec_b32 s10, vcc_lo
	s_xor_b32 s10, exec_lo, s10
	s_cbranch_execz .LBB19_2239
; %bb.1785:
	v_bfe_u32 v6, v5, 20, 1
	s_mov_b32 s7, exec_lo
	v_add3_u32 v6, v5, v6, 0x487ffff
	v_lshrrev_b32_e32 v6, 20, v6
	s_andn2_saveexec_b32 s10, s10
	s_cbranch_execnz .LBB19_2240
.LBB19_1786:
	s_or_b32 exec_lo, exec_lo, s10
	v_mov_b32_e32 v10, 0
	s_and_saveexec_b32 s10, s7
.LBB19_1787:
	v_lshrrev_b32_e32 v10, 24, v5
	v_and_or_b32 v10, 0x80, v10, v6
.LBB19_1788:
	s_or_b32 exec_lo, exec_lo, s10
.LBB19_1789:
	s_or_b32 exec_lo, exec_lo, s6
	global_store_byte v[8:9], v10, off
.LBB19_1790:
	s_mov_b32 s6, -1
.LBB19_1791:
	s_mov_b32 s7, 0
.LBB19_1792:
	s_and_b32 vcc_lo, exec_lo, s7
	s_cbranch_vccz .LBB19_1832
; %bb.1793:
	s_cmp_gt_i32 s4, 22
	s_mov_b32 s5, -1
	s_cbranch_scc0 .LBB19_1825
; %bb.1794:
	s_cmp_lt_i32 s4, 24
	s_cbranch_scc1 .LBB19_1814
; %bb.1795:
	s_cmp_gt_i32 s4, 24
	s_cbranch_scc0 .LBB19_1803
; %bb.1796:
	v_and_b32_e32 v6, 0x7fffffff, v5
	v_mov_b32_e32 v10, 0x80
	s_mov_b32 s5, exec_lo
	v_cmpx_gt_u32_e32 0x47800000, v6
	s_cbranch_execz .LBB19_1802
; %bb.1797:
	v_cmp_lt_u32_e32 vcc_lo, 0x37ffffff, v6
	s_mov_b32 s6, 0
                                        ; implicit-def: $vgpr6
	s_and_saveexec_b32 s7, vcc_lo
	s_xor_b32 s7, exec_lo, s7
	s_cbranch_execz .LBB19_2242
; %bb.1798:
	v_bfe_u32 v6, v5, 21, 1
	s_mov_b32 s6, exec_lo
	v_add3_u32 v6, v5, v6, 0x88fffff
	v_lshrrev_b32_e32 v6, 21, v6
	s_andn2_saveexec_b32 s7, s7
	s_cbranch_execnz .LBB19_2243
.LBB19_1799:
	s_or_b32 exec_lo, exec_lo, s7
	v_mov_b32_e32 v10, 0
	s_and_saveexec_b32 s7, s6
.LBB19_1800:
	v_lshrrev_b32_e32 v10, 24, v5
	v_and_or_b32 v10, 0x80, v10, v6
.LBB19_1801:
	s_or_b32 exec_lo, exec_lo, s7
.LBB19_1802:
	s_or_b32 exec_lo, exec_lo, s5
	s_mov_b32 s5, 0
	global_store_byte v[8:9], v10, off
.LBB19_1803:
	s_and_b32 vcc_lo, exec_lo, s5
	s_cbranch_vccz .LBB19_1813
; %bb.1804:
	v_and_b32_e32 v10, 0x7fffffff, v5
	s_mov_b32 s5, exec_lo
                                        ; implicit-def: $vgpr6
	v_cmpx_gt_u32_e32 0x43f00000, v10
	s_xor_b32 s5, exec_lo, s5
	s_cbranch_execz .LBB19_1810
; %bb.1805:
	s_mov_b32 s6, exec_lo
                                        ; implicit-def: $vgpr6
	v_cmpx_lt_u32_e32 0x3c7fffff, v10
	s_xor_b32 s6, exec_lo, s6
; %bb.1806:
	v_bfe_u32 v6, v5, 20, 1
	v_add3_u32 v6, v5, v6, 0x407ffff
	v_and_b32_e32 v10, 0xff00000, v6
	v_lshrrev_b32_e32 v6, 20, v6
	v_cmp_ne_u32_e32 vcc_lo, 0x7f00000, v10
	v_cndmask_b32_e32 v6, 0x7e, v6, vcc_lo
; %bb.1807:
	s_andn2_saveexec_b32 s6, s6
; %bb.1808:
	v_add_f32_e64 v6, 0x46800000, |v5|
; %bb.1809:
	s_or_b32 exec_lo, exec_lo, s6
                                        ; implicit-def: $vgpr10
.LBB19_1810:
	s_andn2_saveexec_b32 s5, s5
; %bb.1811:
	v_mov_b32_e32 v6, 0x7f
	v_cmp_lt_u32_e32 vcc_lo, 0x7f800000, v10
	v_cndmask_b32_e32 v6, 0x7e, v6, vcc_lo
; %bb.1812:
	s_or_b32 exec_lo, exec_lo, s5
	v_lshrrev_b32_e32 v10, 24, v5
	v_and_or_b32 v6, 0x80, v10, v6
	global_store_byte v[8:9], v6, off
.LBB19_1813:
	s_mov_b32 s5, 0
.LBB19_1814:
	s_andn2_b32 vcc_lo, exec_lo, s5
	s_cbranch_vccnz .LBB19_1824
; %bb.1815:
	v_and_b32_e32 v10, 0x7fffffff, v5
	s_mov_b32 s5, exec_lo
                                        ; implicit-def: $vgpr6
	v_cmpx_gt_u32_e32 0x47800000, v10
	s_xor_b32 s5, exec_lo, s5
	s_cbranch_execz .LBB19_1821
; %bb.1816:
	s_mov_b32 s6, exec_lo
                                        ; implicit-def: $vgpr6
	v_cmpx_lt_u32_e32 0x387fffff, v10
	s_xor_b32 s6, exec_lo, s6
; %bb.1817:
	v_bfe_u32 v6, v5, 21, 1
	v_add3_u32 v6, v5, v6, 0x80fffff
	v_lshrrev_b32_e32 v6, 21, v6
; %bb.1818:
	s_andn2_saveexec_b32 s6, s6
; %bb.1819:
	v_add_f32_e64 v6, 0x43000000, |v5|
; %bb.1820:
	s_or_b32 exec_lo, exec_lo, s6
                                        ; implicit-def: $vgpr10
.LBB19_1821:
	s_andn2_saveexec_b32 s5, s5
; %bb.1822:
	v_mov_b32_e32 v6, 0x7f
	v_cmp_lt_u32_e32 vcc_lo, 0x7f800000, v10
	v_cndmask_b32_e32 v6, 0x7c, v6, vcc_lo
; %bb.1823:
	s_or_b32 exec_lo, exec_lo, s5
	v_lshrrev_b32_e32 v10, 24, v5
	v_and_or_b32 v6, 0x80, v10, v6
	global_store_byte v[8:9], v6, off
.LBB19_1824:
	s_mov_b32 s5, 0
	s_mov_b32 s6, -1
.LBB19_1825:
	s_andn2_b32 vcc_lo, exec_lo, s5
	s_mov_b32 s5, 0
	s_cbranch_vccnz .LBB19_1832
; %bb.1826:
	s_cmp_gt_i32 s4, 14
	s_mov_b32 s5, -1
	s_cbranch_scc0 .LBB19_1830
; %bb.1827:
	s_cmp_eq_u32 s4, 15
	s_mov_b32 s0, -1
	s_cbranch_scc0 .LBB19_1829
; %bb.1828:
	v_bfe_u32 v6, v5, 16, 1
	v_cmp_o_f32_e32 vcc_lo, v5, v5
	v_mov_b32_e32 v10, 0x7fc0
	s_mov_b32 s0, 0
	s_mov_b32 s6, -1
	v_add3_u32 v6, v5, v6, 0x7fff
	v_cndmask_b32_sdwa v6, v10, v6, vcc_lo dst_sel:DWORD dst_unused:UNUSED_PAD src0_sel:DWORD src1_sel:WORD_1
	global_store_short v[8:9], v6, off
.LBB19_1829:
	s_mov_b32 s5, 0
.LBB19_1830:
	s_and_b32 vcc_lo, exec_lo, s5
	s_mov_b32 s5, 0
	s_cbranch_vccz .LBB19_1832
; %bb.1831:
	s_cmp_lg_u32 s4, 11
	s_mov_b32 s5, -1
	s_cselect_b32 s0, -1, 0
.LBB19_1832:
	s_and_b32 vcc_lo, exec_lo, s0
	s_cbranch_vccnz .LBB19_2241
; %bb.1833:
	s_andn2_b32 vcc_lo, exec_lo, s5
	s_cbranch_vccnz .LBB19_1835
.LBB19_1834:
	v_cmp_neq_f32_e32 vcc_lo, 0, v5
	s_mov_b32 s6, -1
	v_cndmask_b32_e64 v6, 0, 1, vcc_lo
	global_store_byte v[8:9], v6, off
.LBB19_1835:
	s_mov_b32 s0, 0
	s_branch .LBB19_1882
.LBB19_1836:
	s_mov_b32 s0, 0
	s_mov_b32 s3, 0
                                        ; implicit-def: $vgpr0_vgpr1
                                        ; implicit-def: $sgpr6
                                        ; implicit-def: $vgpr7
.LBB19_1837:
	s_andn2_b32 s2, s12, exec_lo
	s_and_b32 s1, s1, exec_lo
	s_and_b32 s0, s0, exec_lo
	s_and_b32 s26, s3, exec_lo
	s_or_b32 s12, s2, s1
.LBB19_1838:
	s_or_b32 exec_lo, exec_lo, s13
	s_and_saveexec_b32 s1, s12
	s_cbranch_execz .LBB19_1841
; %bb.1839:
	; divergent unreachable
	s_or_b32 exec_lo, exec_lo, s1
	s_and_saveexec_b32 s1, s26
	s_xor_b32 s1, exec_lo, s1
	s_cbranch_execnz .LBB19_1842
.LBB19_1840:
	s_or_b32 exec_lo, exec_lo, s1
	s_and_saveexec_b32 s1, s0
	s_cbranch_execnz .LBB19_1843
	s_branch .LBB19_1880
.LBB19_1841:
	s_or_b32 exec_lo, exec_lo, s1
	s_and_saveexec_b32 s1, s26
	s_xor_b32 s1, exec_lo, s1
	s_cbranch_execz .LBB19_1840
.LBB19_1842:
	v_cmp_neq_f32_e32 vcc_lo, 0, v7
	v_cndmask_b32_e64 v2, 0, 1, vcc_lo
	s_waitcnt vmcnt(0)
	global_store_byte v[0:1], v2, off
	s_or_b32 exec_lo, exec_lo, s1
	s_and_saveexec_b32 s1, s0
	s_cbranch_execz .LBB19_1880
.LBB19_1843:
	s_sext_i32_i16 s1, s6
	s_mov_b32 s0, -1
	s_cmp_lt_i32 s1, 5
	s_cbranch_scc1 .LBB19_1864
; %bb.1844:
	s_cmp_lt_i32 s1, 8
	s_cbranch_scc1 .LBB19_1854
; %bb.1845:
	;; [unrolled: 3-line block ×3, first 2 shown]
	s_cmp_gt_i32 s1, 9
	s_cbranch_scc0 .LBB19_1848
; %bb.1847:
	s_waitcnt vmcnt(0)
	v_cvt_f64_f32_e32 v[2:3], v7
	v_mov_b32_e32 v4, 0
	s_mov_b32 s0, 0
	v_mov_b32_e32 v5, v4
	global_store_dwordx4 v[0:1], v[2:5], off
.LBB19_1848:
	s_andn2_b32 vcc_lo, exec_lo, s0
	s_cbranch_vccnz .LBB19_1850
; %bb.1849:
	v_mov_b32_e32 v8, 0
	s_waitcnt vmcnt(0)
	global_store_dwordx2 v[0:1], v[7:8], off
.LBB19_1850:
	s_mov_b32 s0, 0
.LBB19_1851:
	s_andn2_b32 vcc_lo, exec_lo, s0
	s_cbranch_vccnz .LBB19_1853
; %bb.1852:
	v_cvt_f16_f32_e32 v2, v7
	v_and_b32_e32 v2, 0xffff, v2
	s_waitcnt vmcnt(0)
	global_store_dword v[0:1], v2, off
.LBB19_1853:
	s_mov_b32 s0, 0
.LBB19_1854:
	s_andn2_b32 vcc_lo, exec_lo, s0
	s_cbranch_vccnz .LBB19_1863
; %bb.1855:
	s_sext_i32_i16 s1, s6
	s_mov_b32 s0, -1
	s_cmp_lt_i32 s1, 6
	s_cbranch_scc1 .LBB19_1861
; %bb.1856:
	s_cmp_gt_i32 s1, 6
	s_cbranch_scc0 .LBB19_1858
; %bb.1857:
	s_waitcnt vmcnt(0)
	v_cvt_f64_f32_e32 v[2:3], v7
	s_mov_b32 s0, 0
	global_store_dwordx2 v[0:1], v[2:3], off
.LBB19_1858:
	s_andn2_b32 vcc_lo, exec_lo, s0
	s_cbranch_vccnz .LBB19_1860
; %bb.1859:
	s_waitcnt vmcnt(0)
	global_store_dword v[0:1], v7, off
.LBB19_1860:
	s_mov_b32 s0, 0
.LBB19_1861:
	s_andn2_b32 vcc_lo, exec_lo, s0
	s_cbranch_vccnz .LBB19_1863
; %bb.1862:
	v_cvt_f16_f32_e32 v2, v7
	s_waitcnt vmcnt(0)
	global_store_short v[0:1], v2, off
.LBB19_1863:
	s_mov_b32 s0, 0
.LBB19_1864:
	s_andn2_b32 vcc_lo, exec_lo, s0
	s_cbranch_vccnz .LBB19_1880
; %bb.1865:
	s_sext_i32_i16 s1, s6
	s_mov_b32 s0, -1
	s_cmp_lt_i32 s1, 2
	s_cbranch_scc1 .LBB19_1875
; %bb.1866:
	s_cmp_lt_i32 s1, 3
	s_cbranch_scc1 .LBB19_1872
; %bb.1867:
	s_cmp_gt_i32 s1, 3
	s_cbranch_scc0 .LBB19_1869
; %bb.1868:
	v_trunc_f32_e32 v2, v7
	s_mov_b32 s0, 0
	s_waitcnt vmcnt(0)
	v_mul_f32_e64 v3, 0x2f800000, |v2|
	v_ashrrev_i32_e32 v5, 31, v2
	v_floor_f32_e32 v3, v3
	v_fma_f32 v4, 0xcf800000, v3, |v2|
	v_cvt_u32_f32_e32 v3, v3
	v_cvt_u32_f32_e32 v2, v4
	v_xor_b32_e32 v3, v3, v5
	v_xor_b32_e32 v2, v2, v5
	v_sub_co_u32 v2, vcc_lo, v2, v5
	v_sub_co_ci_u32_e64 v3, null, v3, v5, vcc_lo
	global_store_dwordx2 v[0:1], v[2:3], off
.LBB19_1869:
	s_andn2_b32 vcc_lo, exec_lo, s0
	s_cbranch_vccnz .LBB19_1871
; %bb.1870:
	v_cvt_i32_f32_e32 v2, v7
	s_waitcnt vmcnt(0)
	global_store_dword v[0:1], v2, off
.LBB19_1871:
	s_mov_b32 s0, 0
.LBB19_1872:
	s_andn2_b32 vcc_lo, exec_lo, s0
	s_cbranch_vccnz .LBB19_1874
; %bb.1873:
	v_cvt_i32_f32_e32 v2, v7
	s_waitcnt vmcnt(0)
	global_store_short v[0:1], v2, off
.LBB19_1874:
	s_mov_b32 s0, 0
.LBB19_1875:
	s_andn2_b32 vcc_lo, exec_lo, s0
	s_cbranch_vccnz .LBB19_1880
; %bb.1876:
	s_sext_i32_i16 s0, s6
	s_cmp_gt_i32 s0, 0
	s_mov_b32 s0, -1
	s_cbranch_scc0 .LBB19_1878
; %bb.1877:
	v_cvt_i32_f32_e32 v2, v7
	s_mov_b32 s0, 0
	s_waitcnt vmcnt(0)
	global_store_byte v[0:1], v2, off
.LBB19_1878:
	s_andn2_b32 vcc_lo, exec_lo, s0
	s_cbranch_vccnz .LBB19_1880
; %bb.1879:
	v_trunc_f32_e32 v2, v7
	s_waitcnt vmcnt(0)
	v_mul_f32_e64 v3, 0x2f800000, |v2|
	v_floor_f32_e32 v3, v3
	v_fma_f32 v3, 0xcf800000, v3, |v2|
	v_ashrrev_i32_e32 v2, 31, v2
	v_cvt_u32_f32_e32 v3, v3
	v_xor_b32_e32 v3, v3, v2
	v_sub_nc_u32_e32 v2, v3, v2
	global_store_byte v[0:1], v2, off
	s_endpgm
.LBB19_1880:
	s_endpgm
.LBB19_1881:
	s_mov_b32 s0, -1
	s_mov_b32 s6, 0
.LBB19_1882:
	s_and_b32 vcc_lo, exec_lo, s0
	s_cbranch_vccz .LBB19_1921
; %bb.1883:
	s_and_b32 s0, 0xffff, s3
	s_mov_b32 s3, -1
	s_cmp_lt_i32 s0, 5
	s_cbranch_scc1 .LBB19_1904
; %bb.1884:
	s_cmp_lt_i32 s0, 8
	s_cbranch_scc1 .LBB19_1894
; %bb.1885:
	;; [unrolled: 3-line block ×3, first 2 shown]
	s_cmp_gt_i32 s0, 9
	s_cbranch_scc0 .LBB19_1888
; %bb.1887:
	v_cvt_f64_f32_e32 v[10:11], v5
	v_mov_b32_e32 v12, 0
	s_mov_b32 s3, 0
	v_mov_b32_e32 v13, v12
	global_store_dwordx4 v[8:9], v[10:13], off
.LBB19_1888:
	s_andn2_b32 vcc_lo, exec_lo, s3
	s_cbranch_vccnz .LBB19_1890
; %bb.1889:
	v_mov_b32_e32 v6, 0
	global_store_dwordx2 v[8:9], v[5:6], off
.LBB19_1890:
	s_mov_b32 s3, 0
.LBB19_1891:
	s_andn2_b32 vcc_lo, exec_lo, s3
	s_cbranch_vccnz .LBB19_1893
; %bb.1892:
	v_cvt_f16_f32_e32 v6, v5
	v_and_b32_e32 v6, 0xffff, v6
	global_store_dword v[8:9], v6, off
.LBB19_1893:
	s_mov_b32 s3, 0
.LBB19_1894:
	s_andn2_b32 vcc_lo, exec_lo, s3
	s_cbranch_vccnz .LBB19_1903
; %bb.1895:
	s_cmp_lt_i32 s0, 6
	s_mov_b32 s3, -1
	s_cbranch_scc1 .LBB19_1901
; %bb.1896:
	s_cmp_gt_i32 s0, 6
	s_cbranch_scc0 .LBB19_1898
; %bb.1897:
	v_cvt_f64_f32_e32 v[10:11], v5
	s_mov_b32 s3, 0
	global_store_dwordx2 v[8:9], v[10:11], off
.LBB19_1898:
	s_andn2_b32 vcc_lo, exec_lo, s3
	s_cbranch_vccnz .LBB19_1900
; %bb.1899:
	global_store_dword v[8:9], v5, off
.LBB19_1900:
	s_mov_b32 s3, 0
.LBB19_1901:
	s_andn2_b32 vcc_lo, exec_lo, s3
	s_cbranch_vccnz .LBB19_1903
; %bb.1902:
	v_cvt_f16_f32_e32 v6, v5
	global_store_short v[8:9], v6, off
.LBB19_1903:
	s_mov_b32 s3, 0
.LBB19_1904:
	s_andn2_b32 vcc_lo, exec_lo, s3
	s_cbranch_vccnz .LBB19_1920
; %bb.1905:
	s_cmp_lt_i32 s0, 2
	s_mov_b32 s3, -1
	s_cbranch_scc1 .LBB19_1915
; %bb.1906:
	s_cmp_lt_i32 s0, 3
	s_cbranch_scc1 .LBB19_1912
; %bb.1907:
	s_cmp_gt_i32 s0, 3
	s_cbranch_scc0 .LBB19_1909
; %bb.1908:
	v_trunc_f32_e32 v6, v5
	s_mov_b32 s3, 0
	v_mul_f32_e64 v10, 0x2f800000, |v6|
	v_floor_f32_e32 v10, v10
	v_fma_f32 v11, 0xcf800000, v10, |v6|
	v_ashrrev_i32_e32 v6, 31, v6
	v_cvt_u32_f32_e32 v10, v10
	v_cvt_u32_f32_e32 v11, v11
	v_xor_b32_e32 v12, v10, v6
	v_xor_b32_e32 v11, v11, v6
	v_sub_co_u32 v10, vcc_lo, v11, v6
	v_sub_co_ci_u32_e64 v11, null, v12, v6, vcc_lo
	global_store_dwordx2 v[8:9], v[10:11], off
.LBB19_1909:
	s_andn2_b32 vcc_lo, exec_lo, s3
	s_cbranch_vccnz .LBB19_1911
; %bb.1910:
	v_cvt_i32_f32_e32 v6, v5
	global_store_dword v[8:9], v6, off
.LBB19_1911:
	s_mov_b32 s3, 0
.LBB19_1912:
	s_andn2_b32 vcc_lo, exec_lo, s3
	s_cbranch_vccnz .LBB19_1914
; %bb.1913:
	v_cvt_i32_f32_e32 v6, v5
	global_store_short v[8:9], v6, off
.LBB19_1914:
	s_mov_b32 s3, 0
.LBB19_1915:
	s_andn2_b32 vcc_lo, exec_lo, s3
	s_cbranch_vccnz .LBB19_1920
; %bb.1916:
	s_cmp_gt_i32 s0, 0
	s_mov_b32 s0, -1
	s_cbranch_scc0 .LBB19_1918
; %bb.1917:
	v_cvt_i32_f32_e32 v6, v5
	s_mov_b32 s0, 0
	global_store_byte v[8:9], v6, off
.LBB19_1918:
	s_andn2_b32 vcc_lo, exec_lo, s0
	s_cbranch_vccnz .LBB19_1920
; %bb.1919:
	v_trunc_f32_e32 v5, v5
	v_mul_f32_e64 v6, 0x2f800000, |v5|
	v_floor_f32_e32 v6, v6
	v_fma_f32 v6, 0xcf800000, v6, |v5|
	v_ashrrev_i32_e32 v5, 31, v5
	v_cvt_u32_f32_e32 v6, v6
	v_xor_b32_e32 v6, v6, v5
	v_sub_nc_u32_e32 v5, v6, v5
	global_store_byte v[8:9], v5, off
.LBB19_1920:
	s_mov_b32 s6, -1
.LBB19_1921:
	s_andn2_b32 vcc_lo, exec_lo, s6
	s_cbranch_vccnz .LBB19_2236
; %bb.1922:
	s_lshr_b32 s0, s2, 8
	s_and_b32 s6, s0, 0xff
	v_add_co_u32 v5, s0, s8, v4
	v_add_co_ci_u32_e64 v6, null, s9, 0, s0
	s_cmp_lt_i32 s6, 11
	s_cbranch_scc1 .LBB19_2000
; %bb.1923:
	s_and_b32 s2, 0xffff, s6
	s_mov_b32 s5, -1
	s_mov_b32 s3, 0
	s_cmp_gt_i32 s2, 25
	s_mov_b32 s4, 0
	s_mov_b32 s0, 0
	s_cbranch_scc0 .LBB19_1956
; %bb.1924:
	s_cmp_gt_i32 s2, 28
	s_cbranch_scc0 .LBB19_1939
; %bb.1925:
	s_cmp_gt_i32 s2, 43
	;; [unrolled: 3-line block ×3, first 2 shown]
	s_cbranch_scc0 .LBB19_1929
; %bb.1927:
	s_mov_b32 s0, -1
	s_mov_b32 s5, 0
	s_cmp_eq_u32 s2, 46
	s_cbranch_scc0 .LBB19_1929
; %bb.1928:
	v_bfe_u32 v4, v3, 16, 1
	v_cmp_o_f32_e32 vcc_lo, v3, v3
	v_mov_b32_e32 v8, 0x7fc0
	s_mov_b32 s0, 0
	s_mov_b32 s4, -1
	v_add3_u32 v4, v3, v4, 0x7fff
	v_cndmask_b32_sdwa v4, v8, v4, vcc_lo dst_sel:DWORD dst_unused:UNUSED_PAD src0_sel:DWORD src1_sel:WORD_1
	global_store_dword v[5:6], v4, off
.LBB19_1929:
	s_and_b32 vcc_lo, exec_lo, s5
	s_cbranch_vccz .LBB19_1934
; %bb.1930:
	s_cmp_eq_u32 s2, 44
	s_mov_b32 s0, -1
	s_cbranch_scc0 .LBB19_1934
; %bb.1931:
	v_bfe_u32 v8, v3, 23, 8
	v_mov_b32_e32 v4, 0xff
	s_mov_b32 s4, exec_lo
	v_cmpx_ne_u32_e32 0xff, v8
	s_cbranch_execz .LBB19_1933
; %bb.1932:
	v_and_b32_e32 v4, 0x400000, v3
	v_and_or_b32 v8, 0x3fffff, v3, v8
	v_cmp_ne_u32_e32 vcc_lo, 0, v4
	v_cmp_ne_u32_e64 s0, 0, v8
	v_lshrrev_b32_e32 v4, 23, v3
	s_and_b32 s0, vcc_lo, s0
	v_cndmask_b32_e64 v8, 0, 1, s0
	v_add_nc_u32_e32 v4, v4, v8
.LBB19_1933:
	s_or_b32 exec_lo, exec_lo, s4
	s_mov_b32 s0, 0
	s_mov_b32 s4, -1
	global_store_byte v[5:6], v4, off
.LBB19_1934:
	s_mov_b32 s5, 0
.LBB19_1935:
	s_and_b32 vcc_lo, exec_lo, s5
	s_cbranch_vccz .LBB19_1938
; %bb.1936:
	s_cmp_eq_u32 s2, 29
	s_mov_b32 s0, -1
	s_cbranch_scc0 .LBB19_1938
; %bb.1937:
	v_trunc_f32_e32 v4, v3
	s_mov_b32 s0, 0
	s_mov_b32 s4, -1
	v_mul_f32_e32 v8, 0x2f800000, v4
	v_floor_f32_e32 v8, v8
	v_fmamk_f32 v4, v8, 0xcf800000, v4
	v_cvt_u32_f32_e32 v9, v8
	v_cvt_u32_f32_e32 v8, v4
	global_store_dwordx2 v[5:6], v[8:9], off
.LBB19_1938:
	s_mov_b32 s5, 0
.LBB19_1939:
	s_and_b32 vcc_lo, exec_lo, s5
	s_cbranch_vccz .LBB19_1955
; %bb.1940:
	s_cmp_lt_i32 s2, 27
	s_mov_b32 s4, -1
	s_cbranch_scc1 .LBB19_1946
; %bb.1941:
	s_cmp_gt_i32 s2, 27
	s_cbranch_scc0 .LBB19_1943
; %bb.1942:
	v_cvt_u32_f32_e32 v4, v3
	s_mov_b32 s4, 0
	global_store_dword v[5:6], v4, off
.LBB19_1943:
	s_andn2_b32 vcc_lo, exec_lo, s4
	s_cbranch_vccnz .LBB19_1945
; %bb.1944:
	v_cvt_u32_f32_e32 v4, v3
	global_store_short v[5:6], v4, off
.LBB19_1945:
	s_mov_b32 s4, 0
.LBB19_1946:
	s_andn2_b32 vcc_lo, exec_lo, s4
	s_cbranch_vccnz .LBB19_1954
; %bb.1947:
	v_and_b32_e32 v4, 0x7fffffff, v3
	v_mov_b32_e32 v8, 0x80
	s_mov_b32 s4, exec_lo
	v_cmpx_gt_u32_e32 0x43800000, v4
	s_cbranch_execz .LBB19_1953
; %bb.1948:
	v_cmp_lt_u32_e32 vcc_lo, 0x3bffffff, v4
	s_mov_b32 s5, 0
                                        ; implicit-def: $vgpr4
	s_and_saveexec_b32 s7, vcc_lo
	s_xor_b32 s7, exec_lo, s7
	s_cbranch_execz .LBB19_2244
; %bb.1949:
	v_bfe_u32 v4, v3, 20, 1
	s_mov_b32 s5, exec_lo
	v_add3_u32 v4, v3, v4, 0x487ffff
	v_lshrrev_b32_e32 v4, 20, v4
	s_andn2_saveexec_b32 s7, s7
	s_cbranch_execnz .LBB19_2245
.LBB19_1950:
	s_or_b32 exec_lo, exec_lo, s7
	v_mov_b32_e32 v8, 0
	s_and_saveexec_b32 s7, s5
.LBB19_1951:
	v_lshrrev_b32_e32 v8, 24, v3
	v_and_or_b32 v8, 0x80, v8, v4
.LBB19_1952:
	s_or_b32 exec_lo, exec_lo, s7
.LBB19_1953:
	s_or_b32 exec_lo, exec_lo, s4
	global_store_byte v[5:6], v8, off
.LBB19_1954:
	s_mov_b32 s4, -1
.LBB19_1955:
	s_mov_b32 s5, 0
.LBB19_1956:
	s_and_b32 vcc_lo, exec_lo, s5
	s_cbranch_vccz .LBB19_1996
; %bb.1957:
	s_cmp_gt_i32 s2, 22
	s_mov_b32 s3, -1
	s_cbranch_scc0 .LBB19_1989
; %bb.1958:
	s_cmp_lt_i32 s2, 24
	s_cbranch_scc1 .LBB19_1978
; %bb.1959:
	s_cmp_gt_i32 s2, 24
	s_cbranch_scc0 .LBB19_1967
; %bb.1960:
	v_and_b32_e32 v4, 0x7fffffff, v3
	v_mov_b32_e32 v8, 0x80
	s_mov_b32 s3, exec_lo
	v_cmpx_gt_u32_e32 0x47800000, v4
	s_cbranch_execz .LBB19_1966
; %bb.1961:
	v_cmp_lt_u32_e32 vcc_lo, 0x37ffffff, v4
	s_mov_b32 s4, 0
                                        ; implicit-def: $vgpr4
	s_and_saveexec_b32 s5, vcc_lo
	s_xor_b32 s5, exec_lo, s5
	s_cbranch_execz .LBB19_2247
; %bb.1962:
	v_bfe_u32 v4, v3, 21, 1
	s_mov_b32 s4, exec_lo
	v_add3_u32 v4, v3, v4, 0x88fffff
	v_lshrrev_b32_e32 v4, 21, v4
	s_andn2_saveexec_b32 s5, s5
	s_cbranch_execnz .LBB19_2248
.LBB19_1963:
	s_or_b32 exec_lo, exec_lo, s5
	v_mov_b32_e32 v8, 0
	s_and_saveexec_b32 s5, s4
.LBB19_1964:
	v_lshrrev_b32_e32 v8, 24, v3
	v_and_or_b32 v8, 0x80, v8, v4
.LBB19_1965:
	s_or_b32 exec_lo, exec_lo, s5
.LBB19_1966:
	s_or_b32 exec_lo, exec_lo, s3
	s_mov_b32 s3, 0
	global_store_byte v[5:6], v8, off
.LBB19_1967:
	s_and_b32 vcc_lo, exec_lo, s3
	s_cbranch_vccz .LBB19_1977
; %bb.1968:
	v_and_b32_e32 v8, 0x7fffffff, v3
	s_mov_b32 s3, exec_lo
                                        ; implicit-def: $vgpr4
	v_cmpx_gt_u32_e32 0x43f00000, v8
	s_xor_b32 s3, exec_lo, s3
	s_cbranch_execz .LBB19_1974
; %bb.1969:
	s_mov_b32 s4, exec_lo
                                        ; implicit-def: $vgpr4
	v_cmpx_lt_u32_e32 0x3c7fffff, v8
	s_xor_b32 s4, exec_lo, s4
; %bb.1970:
	v_bfe_u32 v4, v3, 20, 1
	v_add3_u32 v4, v3, v4, 0x407ffff
	v_and_b32_e32 v8, 0xff00000, v4
	v_lshrrev_b32_e32 v4, 20, v4
	v_cmp_ne_u32_e32 vcc_lo, 0x7f00000, v8
	v_cndmask_b32_e32 v4, 0x7e, v4, vcc_lo
; %bb.1971:
	s_andn2_saveexec_b32 s4, s4
; %bb.1972:
	v_add_f32_e64 v4, 0x46800000, |v3|
; %bb.1973:
	s_or_b32 exec_lo, exec_lo, s4
                                        ; implicit-def: $vgpr8
.LBB19_1974:
	s_andn2_saveexec_b32 s3, s3
; %bb.1975:
	v_mov_b32_e32 v4, 0x7f
	v_cmp_lt_u32_e32 vcc_lo, 0x7f800000, v8
	v_cndmask_b32_e32 v4, 0x7e, v4, vcc_lo
; %bb.1976:
	s_or_b32 exec_lo, exec_lo, s3
	v_lshrrev_b32_e32 v8, 24, v3
	v_and_or_b32 v4, 0x80, v8, v4
	global_store_byte v[5:6], v4, off
.LBB19_1977:
	s_mov_b32 s3, 0
.LBB19_1978:
	s_andn2_b32 vcc_lo, exec_lo, s3
	s_cbranch_vccnz .LBB19_1988
; %bb.1979:
	v_and_b32_e32 v8, 0x7fffffff, v3
	s_mov_b32 s3, exec_lo
                                        ; implicit-def: $vgpr4
	v_cmpx_gt_u32_e32 0x47800000, v8
	s_xor_b32 s3, exec_lo, s3
	s_cbranch_execz .LBB19_1985
; %bb.1980:
	s_mov_b32 s4, exec_lo
                                        ; implicit-def: $vgpr4
	v_cmpx_lt_u32_e32 0x387fffff, v8
	s_xor_b32 s4, exec_lo, s4
; %bb.1981:
	v_bfe_u32 v4, v3, 21, 1
	v_add3_u32 v4, v3, v4, 0x80fffff
	v_lshrrev_b32_e32 v4, 21, v4
; %bb.1982:
	s_andn2_saveexec_b32 s4, s4
; %bb.1983:
	v_add_f32_e64 v4, 0x43000000, |v3|
; %bb.1984:
	s_or_b32 exec_lo, exec_lo, s4
                                        ; implicit-def: $vgpr8
.LBB19_1985:
	s_andn2_saveexec_b32 s3, s3
; %bb.1986:
	v_mov_b32_e32 v4, 0x7f
	v_cmp_lt_u32_e32 vcc_lo, 0x7f800000, v8
	v_cndmask_b32_e32 v4, 0x7c, v4, vcc_lo
; %bb.1987:
	s_or_b32 exec_lo, exec_lo, s3
	v_lshrrev_b32_e32 v8, 24, v3
	v_and_or_b32 v4, 0x80, v8, v4
	global_store_byte v[5:6], v4, off
.LBB19_1988:
	s_mov_b32 s3, 0
	s_mov_b32 s4, -1
.LBB19_1989:
	s_andn2_b32 vcc_lo, exec_lo, s3
	s_mov_b32 s3, 0
	s_cbranch_vccnz .LBB19_1996
; %bb.1990:
	s_cmp_gt_i32 s2, 14
	s_mov_b32 s3, -1
	s_cbranch_scc0 .LBB19_1994
; %bb.1991:
	s_cmp_eq_u32 s2, 15
	s_mov_b32 s0, -1
	s_cbranch_scc0 .LBB19_1993
; %bb.1992:
	v_bfe_u32 v4, v3, 16, 1
	v_cmp_o_f32_e32 vcc_lo, v3, v3
	v_mov_b32_e32 v8, 0x7fc0
	s_mov_b32 s0, 0
	s_mov_b32 s4, -1
	v_add3_u32 v4, v3, v4, 0x7fff
	v_cndmask_b32_sdwa v4, v8, v4, vcc_lo dst_sel:DWORD dst_unused:UNUSED_PAD src0_sel:DWORD src1_sel:WORD_1
	global_store_short v[5:6], v4, off
.LBB19_1993:
	s_mov_b32 s3, 0
.LBB19_1994:
	s_and_b32 vcc_lo, exec_lo, s3
	s_mov_b32 s3, 0
	s_cbranch_vccz .LBB19_1996
; %bb.1995:
	s_cmp_lg_u32 s2, 11
	s_mov_b32 s3, -1
	s_cselect_b32 s0, -1, 0
.LBB19_1996:
	s_and_b32 vcc_lo, exec_lo, s0
	s_cbranch_vccnz .LBB19_2246
; %bb.1997:
	s_andn2_b32 vcc_lo, exec_lo, s3
	s_cbranch_vccnz .LBB19_1999
.LBB19_1998:
	v_cmp_neq_f32_e32 vcc_lo, 0, v3
	s_mov_b32 s4, -1
	v_cndmask_b32_e64 v4, 0, 1, vcc_lo
	global_store_byte v[5:6], v4, off
.LBB19_1999:
	s_mov_b32 s0, 0
	s_branch .LBB19_2001
.LBB19_2000:
	s_mov_b32 s0, -1
	s_mov_b32 s4, 0
.LBB19_2001:
	s_and_b32 vcc_lo, exec_lo, s0
	s_cbranch_vccz .LBB19_2040
; %bb.2002:
	s_and_b32 s0, 0xffff, s6
	s_mov_b32 s2, -1
	s_cmp_lt_i32 s0, 5
	s_cbranch_scc1 .LBB19_2023
; %bb.2003:
	s_cmp_lt_i32 s0, 8
	s_cbranch_scc1 .LBB19_2013
; %bb.2004:
	;; [unrolled: 3-line block ×3, first 2 shown]
	s_cmp_gt_i32 s0, 9
	s_cbranch_scc0 .LBB19_2007
; %bb.2006:
	v_cvt_f64_f32_e32 v[8:9], v3
	v_mov_b32_e32 v10, 0
	s_mov_b32 s2, 0
	v_mov_b32_e32 v11, v10
	global_store_dwordx4 v[5:6], v[8:11], off
.LBB19_2007:
	s_andn2_b32 vcc_lo, exec_lo, s2
	s_cbranch_vccnz .LBB19_2009
; %bb.2008:
	v_mov_b32_e32 v4, 0
	global_store_dwordx2 v[5:6], v[3:4], off
.LBB19_2009:
	s_mov_b32 s2, 0
.LBB19_2010:
	s_andn2_b32 vcc_lo, exec_lo, s2
	s_cbranch_vccnz .LBB19_2012
; %bb.2011:
	v_cvt_f16_f32_e32 v4, v3
	v_and_b32_e32 v4, 0xffff, v4
	global_store_dword v[5:6], v4, off
.LBB19_2012:
	s_mov_b32 s2, 0
.LBB19_2013:
	s_andn2_b32 vcc_lo, exec_lo, s2
	s_cbranch_vccnz .LBB19_2022
; %bb.2014:
	s_cmp_lt_i32 s0, 6
	s_mov_b32 s2, -1
	s_cbranch_scc1 .LBB19_2020
; %bb.2015:
	s_cmp_gt_i32 s0, 6
	s_cbranch_scc0 .LBB19_2017
; %bb.2016:
	v_cvt_f64_f32_e32 v[8:9], v3
	s_mov_b32 s2, 0
	global_store_dwordx2 v[5:6], v[8:9], off
.LBB19_2017:
	s_andn2_b32 vcc_lo, exec_lo, s2
	s_cbranch_vccnz .LBB19_2019
; %bb.2018:
	global_store_dword v[5:6], v3, off
.LBB19_2019:
	s_mov_b32 s2, 0
.LBB19_2020:
	s_andn2_b32 vcc_lo, exec_lo, s2
	s_cbranch_vccnz .LBB19_2022
; %bb.2021:
	v_cvt_f16_f32_e32 v4, v3
	global_store_short v[5:6], v4, off
.LBB19_2022:
	s_mov_b32 s2, 0
.LBB19_2023:
	s_andn2_b32 vcc_lo, exec_lo, s2
	s_cbranch_vccnz .LBB19_2039
; %bb.2024:
	s_cmp_lt_i32 s0, 2
	s_mov_b32 s2, -1
	s_cbranch_scc1 .LBB19_2034
; %bb.2025:
	s_cmp_lt_i32 s0, 3
	s_cbranch_scc1 .LBB19_2031
; %bb.2026:
	s_cmp_gt_i32 s0, 3
	s_cbranch_scc0 .LBB19_2028
; %bb.2027:
	v_trunc_f32_e32 v4, v3
	s_mov_b32 s2, 0
	v_mul_f32_e64 v8, 0x2f800000, |v4|
	v_floor_f32_e32 v8, v8
	v_fma_f32 v9, 0xcf800000, v8, |v4|
	v_ashrrev_i32_e32 v4, 31, v4
	v_cvt_u32_f32_e32 v8, v8
	v_cvt_u32_f32_e32 v9, v9
	v_xor_b32_e32 v10, v8, v4
	v_xor_b32_e32 v9, v9, v4
	v_sub_co_u32 v8, vcc_lo, v9, v4
	v_sub_co_ci_u32_e64 v9, null, v10, v4, vcc_lo
	global_store_dwordx2 v[5:6], v[8:9], off
.LBB19_2028:
	s_andn2_b32 vcc_lo, exec_lo, s2
	s_cbranch_vccnz .LBB19_2030
; %bb.2029:
	v_cvt_i32_f32_e32 v4, v3
	global_store_dword v[5:6], v4, off
.LBB19_2030:
	s_mov_b32 s2, 0
.LBB19_2031:
	s_andn2_b32 vcc_lo, exec_lo, s2
	s_cbranch_vccnz .LBB19_2033
; %bb.2032:
	v_cvt_i32_f32_e32 v4, v3
	global_store_short v[5:6], v4, off
.LBB19_2033:
	s_mov_b32 s2, 0
.LBB19_2034:
	s_andn2_b32 vcc_lo, exec_lo, s2
	s_cbranch_vccnz .LBB19_2039
; %bb.2035:
	s_cmp_gt_i32 s0, 0
	s_mov_b32 s0, -1
	s_cbranch_scc0 .LBB19_2037
; %bb.2036:
	v_cvt_i32_f32_e32 v4, v3
	s_mov_b32 s0, 0
	global_store_byte v[5:6], v4, off
.LBB19_2037:
	s_andn2_b32 vcc_lo, exec_lo, s0
	s_cbranch_vccnz .LBB19_2039
; %bb.2038:
	v_trunc_f32_e32 v3, v3
	v_mul_f32_e64 v4, 0x2f800000, |v3|
	v_floor_f32_e32 v4, v4
	v_fma_f32 v4, 0xcf800000, v4, |v3|
	v_ashrrev_i32_e32 v3, 31, v3
	v_cvt_u32_f32_e32 v4, v4
	v_xor_b32_e32 v4, v4, v3
	v_sub_nc_u32_e32 v3, v4, v3
	global_store_byte v[5:6], v3, off
.LBB19_2039:
	s_mov_b32 s4, -1
.LBB19_2040:
	s_andn2_b32 vcc_lo, exec_lo, s4
	s_cbranch_vccnz .LBB19_2236
; %bb.2041:
	v_add_co_u32 v3, s0, s8, v2
	v_add_co_ci_u32_e64 v4, null, s9, 0, s0
	s_cmp_lt_i32 s6, 11
	s_cbranch_scc1 .LBB19_2119
; %bb.2042:
	s_and_b32 s2, 0xffff, s6
	s_mov_b32 s5, -1
	s_mov_b32 s3, 0
	s_cmp_gt_i32 s2, 25
	s_mov_b32 s4, 0
	s_mov_b32 s0, 0
	s_cbranch_scc0 .LBB19_2075
; %bb.2043:
	s_cmp_gt_i32 s2, 28
	s_cbranch_scc0 .LBB19_2058
; %bb.2044:
	s_cmp_gt_i32 s2, 43
	;; [unrolled: 3-line block ×3, first 2 shown]
	s_cbranch_scc0 .LBB19_2048
; %bb.2046:
	s_mov_b32 s0, -1
	s_mov_b32 s5, 0
	s_cmp_eq_u32 s2, 46
	s_cbranch_scc0 .LBB19_2048
; %bb.2047:
	v_bfe_u32 v2, v1, 16, 1
	v_cmp_o_f32_e32 vcc_lo, v1, v1
	v_mov_b32_e32 v5, 0x7fc0
	s_mov_b32 s0, 0
	s_mov_b32 s4, -1
	v_add3_u32 v2, v1, v2, 0x7fff
	v_cndmask_b32_sdwa v2, v5, v2, vcc_lo dst_sel:DWORD dst_unused:UNUSED_PAD src0_sel:DWORD src1_sel:WORD_1
	global_store_dword v[3:4], v2, off
.LBB19_2048:
	s_and_b32 vcc_lo, exec_lo, s5
	s_cbranch_vccz .LBB19_2053
; %bb.2049:
	s_cmp_eq_u32 s2, 44
	s_mov_b32 s0, -1
	s_cbranch_scc0 .LBB19_2053
; %bb.2050:
	v_bfe_u32 v5, v1, 23, 8
	v_mov_b32_e32 v2, 0xff
	s_mov_b32 s4, exec_lo
	v_cmpx_ne_u32_e32 0xff, v5
	s_cbranch_execz .LBB19_2052
; %bb.2051:
	v_and_b32_e32 v2, 0x400000, v1
	v_and_or_b32 v5, 0x3fffff, v1, v5
	v_cmp_ne_u32_e32 vcc_lo, 0, v2
	v_cmp_ne_u32_e64 s0, 0, v5
	v_lshrrev_b32_e32 v2, 23, v1
	s_and_b32 s0, vcc_lo, s0
	v_cndmask_b32_e64 v5, 0, 1, s0
	v_add_nc_u32_e32 v2, v2, v5
.LBB19_2052:
	s_or_b32 exec_lo, exec_lo, s4
	s_mov_b32 s0, 0
	s_mov_b32 s4, -1
	global_store_byte v[3:4], v2, off
.LBB19_2053:
	s_mov_b32 s5, 0
.LBB19_2054:
	s_and_b32 vcc_lo, exec_lo, s5
	s_cbranch_vccz .LBB19_2057
; %bb.2055:
	s_cmp_eq_u32 s2, 29
	s_mov_b32 s0, -1
	s_cbranch_scc0 .LBB19_2057
; %bb.2056:
	v_trunc_f32_e32 v2, v1
	s_mov_b32 s0, 0
	s_mov_b32 s4, -1
	v_mul_f32_e32 v5, 0x2f800000, v2
	v_floor_f32_e32 v5, v5
	v_fmamk_f32 v2, v5, 0xcf800000, v2
	v_cvt_u32_f32_e32 v6, v5
	v_cvt_u32_f32_e32 v5, v2
	global_store_dwordx2 v[3:4], v[5:6], off
.LBB19_2057:
	s_mov_b32 s5, 0
.LBB19_2058:
	s_and_b32 vcc_lo, exec_lo, s5
	s_cbranch_vccz .LBB19_2074
; %bb.2059:
	s_cmp_lt_i32 s2, 27
	s_mov_b32 s4, -1
	s_cbranch_scc1 .LBB19_2065
; %bb.2060:
	v_cvt_u32_f32_e32 v2, v1
	s_cmp_gt_i32 s2, 27
	s_cbranch_scc0 .LBB19_2062
; %bb.2061:
	s_mov_b32 s4, 0
	global_store_dword v[3:4], v2, off
.LBB19_2062:
	s_andn2_b32 vcc_lo, exec_lo, s4
	s_cbranch_vccnz .LBB19_2064
; %bb.2063:
	global_store_short v[3:4], v2, off
.LBB19_2064:
	s_mov_b32 s4, 0
.LBB19_2065:
	s_andn2_b32 vcc_lo, exec_lo, s4
	s_cbranch_vccnz .LBB19_2073
; %bb.2066:
	v_and_b32_e32 v2, 0x7fffffff, v1
	v_mov_b32_e32 v5, 0x80
	s_mov_b32 s4, exec_lo
	v_cmpx_gt_u32_e32 0x43800000, v2
	s_cbranch_execz .LBB19_2072
; %bb.2067:
	v_cmp_lt_u32_e32 vcc_lo, 0x3bffffff, v2
	s_mov_b32 s5, 0
                                        ; implicit-def: $vgpr2
	s_and_saveexec_b32 s7, vcc_lo
	s_xor_b32 s7, exec_lo, s7
	s_cbranch_execz .LBB19_2249
; %bb.2068:
	v_bfe_u32 v2, v1, 20, 1
	s_mov_b32 s5, exec_lo
	v_add3_u32 v2, v1, v2, 0x487ffff
	v_lshrrev_b32_e32 v2, 20, v2
	s_andn2_saveexec_b32 s7, s7
	s_cbranch_execnz .LBB19_2250
.LBB19_2069:
	s_or_b32 exec_lo, exec_lo, s7
	v_mov_b32_e32 v5, 0
	s_and_saveexec_b32 s7, s5
.LBB19_2070:
	v_lshrrev_b32_e32 v5, 24, v1
	v_and_or_b32 v5, 0x80, v5, v2
.LBB19_2071:
	s_or_b32 exec_lo, exec_lo, s7
.LBB19_2072:
	s_or_b32 exec_lo, exec_lo, s4
	global_store_byte v[3:4], v5, off
.LBB19_2073:
	s_mov_b32 s4, -1
.LBB19_2074:
	s_mov_b32 s5, 0
.LBB19_2075:
	s_and_b32 vcc_lo, exec_lo, s5
	s_cbranch_vccz .LBB19_2115
; %bb.2076:
	s_cmp_gt_i32 s2, 22
	s_mov_b32 s3, -1
	s_cbranch_scc0 .LBB19_2108
; %bb.2077:
	s_cmp_lt_i32 s2, 24
	s_cbranch_scc1 .LBB19_2097
; %bb.2078:
	s_cmp_gt_i32 s2, 24
	s_cbranch_scc0 .LBB19_2086
; %bb.2079:
	v_and_b32_e32 v2, 0x7fffffff, v1
	v_mov_b32_e32 v5, 0x80
	s_mov_b32 s3, exec_lo
	v_cmpx_gt_u32_e32 0x47800000, v2
	s_cbranch_execz .LBB19_2085
; %bb.2080:
	v_cmp_lt_u32_e32 vcc_lo, 0x37ffffff, v2
	s_mov_b32 s4, 0
                                        ; implicit-def: $vgpr2
	s_and_saveexec_b32 s5, vcc_lo
	s_xor_b32 s5, exec_lo, s5
	s_cbranch_execz .LBB19_2252
; %bb.2081:
	v_bfe_u32 v2, v1, 21, 1
	s_mov_b32 s4, exec_lo
	v_add3_u32 v2, v1, v2, 0x88fffff
	v_lshrrev_b32_e32 v2, 21, v2
	s_andn2_saveexec_b32 s5, s5
	s_cbranch_execnz .LBB19_2253
.LBB19_2082:
	s_or_b32 exec_lo, exec_lo, s5
	v_mov_b32_e32 v5, 0
	s_and_saveexec_b32 s5, s4
.LBB19_2083:
	v_lshrrev_b32_e32 v5, 24, v1
	v_and_or_b32 v5, 0x80, v5, v2
.LBB19_2084:
	s_or_b32 exec_lo, exec_lo, s5
.LBB19_2085:
	s_or_b32 exec_lo, exec_lo, s3
	s_mov_b32 s3, 0
	global_store_byte v[3:4], v5, off
.LBB19_2086:
	s_and_b32 vcc_lo, exec_lo, s3
	s_cbranch_vccz .LBB19_2096
; %bb.2087:
	v_and_b32_e32 v5, 0x7fffffff, v1
	s_mov_b32 s3, exec_lo
                                        ; implicit-def: $vgpr2
	v_cmpx_gt_u32_e32 0x43f00000, v5
	s_xor_b32 s3, exec_lo, s3
	s_cbranch_execz .LBB19_2093
; %bb.2088:
	s_mov_b32 s4, exec_lo
                                        ; implicit-def: $vgpr2
	v_cmpx_lt_u32_e32 0x3c7fffff, v5
	s_xor_b32 s4, exec_lo, s4
; %bb.2089:
	v_bfe_u32 v2, v1, 20, 1
	v_add3_u32 v2, v1, v2, 0x407ffff
	v_and_b32_e32 v5, 0xff00000, v2
	v_lshrrev_b32_e32 v2, 20, v2
	v_cmp_ne_u32_e32 vcc_lo, 0x7f00000, v5
	v_cndmask_b32_e32 v2, 0x7e, v2, vcc_lo
; %bb.2090:
	s_andn2_saveexec_b32 s4, s4
; %bb.2091:
	v_add_f32_e64 v2, 0x46800000, |v1|
; %bb.2092:
	s_or_b32 exec_lo, exec_lo, s4
                                        ; implicit-def: $vgpr5
.LBB19_2093:
	s_andn2_saveexec_b32 s3, s3
; %bb.2094:
	v_mov_b32_e32 v2, 0x7f
	v_cmp_lt_u32_e32 vcc_lo, 0x7f800000, v5
	v_cndmask_b32_e32 v2, 0x7e, v2, vcc_lo
; %bb.2095:
	s_or_b32 exec_lo, exec_lo, s3
	v_lshrrev_b32_e32 v5, 24, v1
	v_and_or_b32 v2, 0x80, v5, v2
	global_store_byte v[3:4], v2, off
.LBB19_2096:
	s_mov_b32 s3, 0
.LBB19_2097:
	s_andn2_b32 vcc_lo, exec_lo, s3
	s_cbranch_vccnz .LBB19_2107
; %bb.2098:
	v_and_b32_e32 v5, 0x7fffffff, v1
	s_mov_b32 s3, exec_lo
                                        ; implicit-def: $vgpr2
	v_cmpx_gt_u32_e32 0x47800000, v5
	s_xor_b32 s3, exec_lo, s3
	s_cbranch_execz .LBB19_2104
; %bb.2099:
	s_mov_b32 s4, exec_lo
                                        ; implicit-def: $vgpr2
	v_cmpx_lt_u32_e32 0x387fffff, v5
	s_xor_b32 s4, exec_lo, s4
; %bb.2100:
	v_bfe_u32 v2, v1, 21, 1
	v_add3_u32 v2, v1, v2, 0x80fffff
	v_lshrrev_b32_e32 v2, 21, v2
; %bb.2101:
	s_andn2_saveexec_b32 s4, s4
; %bb.2102:
	v_add_f32_e64 v2, 0x43000000, |v1|
; %bb.2103:
	s_or_b32 exec_lo, exec_lo, s4
                                        ; implicit-def: $vgpr5
.LBB19_2104:
	s_andn2_saveexec_b32 s3, s3
; %bb.2105:
	v_mov_b32_e32 v2, 0x7f
	v_cmp_lt_u32_e32 vcc_lo, 0x7f800000, v5
	v_cndmask_b32_e32 v2, 0x7c, v2, vcc_lo
; %bb.2106:
	s_or_b32 exec_lo, exec_lo, s3
	v_lshrrev_b32_e32 v5, 24, v1
	v_and_or_b32 v2, 0x80, v5, v2
	global_store_byte v[3:4], v2, off
.LBB19_2107:
	s_mov_b32 s3, 0
	s_mov_b32 s4, -1
.LBB19_2108:
	s_andn2_b32 vcc_lo, exec_lo, s3
	s_mov_b32 s3, 0
	s_cbranch_vccnz .LBB19_2115
; %bb.2109:
	s_cmp_gt_i32 s2, 14
	s_mov_b32 s3, -1
	s_cbranch_scc0 .LBB19_2113
; %bb.2110:
	s_cmp_eq_u32 s2, 15
	s_mov_b32 s0, -1
	s_cbranch_scc0 .LBB19_2112
; %bb.2111:
	v_bfe_u32 v2, v1, 16, 1
	v_cmp_o_f32_e32 vcc_lo, v1, v1
	v_mov_b32_e32 v5, 0x7fc0
	s_mov_b32 s0, 0
	s_mov_b32 s4, -1
	v_add3_u32 v2, v1, v2, 0x7fff
	v_cndmask_b32_sdwa v2, v5, v2, vcc_lo dst_sel:DWORD dst_unused:UNUSED_PAD src0_sel:DWORD src1_sel:WORD_1
	global_store_short v[3:4], v2, off
.LBB19_2112:
	s_mov_b32 s3, 0
.LBB19_2113:
	s_and_b32 vcc_lo, exec_lo, s3
	s_mov_b32 s3, 0
	s_cbranch_vccz .LBB19_2115
; %bb.2114:
	s_cmp_lg_u32 s2, 11
	s_mov_b32 s3, -1
	s_cselect_b32 s0, -1, 0
.LBB19_2115:
	s_and_b32 vcc_lo, exec_lo, s0
	s_cbranch_vccnz .LBB19_2251
; %bb.2116:
	s_andn2_b32 vcc_lo, exec_lo, s3
	s_cbranch_vccnz .LBB19_2118
.LBB19_2117:
	v_cmp_neq_f32_e32 vcc_lo, 0, v1
	s_mov_b32 s4, -1
	v_cndmask_b32_e64 v2, 0, 1, vcc_lo
	global_store_byte v[3:4], v2, off
.LBB19_2118:
	s_mov_b32 s0, 0
	s_branch .LBB19_2120
.LBB19_2119:
	s_mov_b32 s0, -1
	s_mov_b32 s4, 0
.LBB19_2120:
	s_and_b32 vcc_lo, exec_lo, s0
	s_cbranch_vccz .LBB19_2159
; %bb.2121:
	s_and_b32 s0, 0xffff, s6
	s_mov_b32 s2, -1
	s_cmp_lt_i32 s0, 5
	s_cbranch_scc1 .LBB19_2142
; %bb.2122:
	s_cmp_lt_i32 s0, 8
	s_cbranch_scc1 .LBB19_2132
; %bb.2123:
	;; [unrolled: 3-line block ×3, first 2 shown]
	s_cmp_gt_i32 s0, 9
	s_cbranch_scc0 .LBB19_2126
; %bb.2125:
	v_cvt_f64_f32_e32 v[8:9], v1
	v_mov_b32_e32 v10, 0
	s_mov_b32 s2, 0
	v_mov_b32_e32 v11, v10
	global_store_dwordx4 v[3:4], v[8:11], off
.LBB19_2126:
	s_andn2_b32 vcc_lo, exec_lo, s2
	s_cbranch_vccnz .LBB19_2128
; %bb.2127:
	v_mov_b32_e32 v2, 0
	global_store_dwordx2 v[3:4], v[1:2], off
.LBB19_2128:
	s_mov_b32 s2, 0
.LBB19_2129:
	s_andn2_b32 vcc_lo, exec_lo, s2
	s_cbranch_vccnz .LBB19_2131
; %bb.2130:
	v_cvt_f16_f32_e32 v2, v1
	v_and_b32_e32 v2, 0xffff, v2
	global_store_dword v[3:4], v2, off
.LBB19_2131:
	s_mov_b32 s2, 0
.LBB19_2132:
	s_andn2_b32 vcc_lo, exec_lo, s2
	s_cbranch_vccnz .LBB19_2141
; %bb.2133:
	s_cmp_lt_i32 s0, 6
	s_mov_b32 s2, -1
	s_cbranch_scc1 .LBB19_2139
; %bb.2134:
	s_cmp_gt_i32 s0, 6
	s_cbranch_scc0 .LBB19_2136
; %bb.2135:
	v_cvt_f64_f32_e32 v[5:6], v1
	s_mov_b32 s2, 0
	global_store_dwordx2 v[3:4], v[5:6], off
.LBB19_2136:
	s_andn2_b32 vcc_lo, exec_lo, s2
	s_cbranch_vccnz .LBB19_2138
; %bb.2137:
	global_store_dword v[3:4], v1, off
.LBB19_2138:
	s_mov_b32 s2, 0
.LBB19_2139:
	s_andn2_b32 vcc_lo, exec_lo, s2
	s_cbranch_vccnz .LBB19_2141
; %bb.2140:
	v_cvt_f16_f32_e32 v2, v1
	global_store_short v[3:4], v2, off
.LBB19_2141:
	s_mov_b32 s2, 0
.LBB19_2142:
	s_andn2_b32 vcc_lo, exec_lo, s2
	s_cbranch_vccnz .LBB19_2158
; %bb.2143:
	s_cmp_lt_i32 s0, 2
	s_mov_b32 s2, -1
	s_cbranch_scc1 .LBB19_2153
; %bb.2144:
	s_cmp_lt_i32 s0, 3
	s_cbranch_scc1 .LBB19_2150
; %bb.2145:
	s_cmp_gt_i32 s0, 3
	s_cbranch_scc0 .LBB19_2147
; %bb.2146:
	v_trunc_f32_e32 v2, v1
	s_mov_b32 s2, 0
	v_mul_f32_e64 v5, 0x2f800000, |v2|
	v_floor_f32_e32 v5, v5
	v_fma_f32 v6, 0xcf800000, v5, |v2|
	v_ashrrev_i32_e32 v2, 31, v2
	v_cvt_u32_f32_e32 v5, v5
	v_cvt_u32_f32_e32 v6, v6
	v_xor_b32_e32 v8, v5, v2
	v_xor_b32_e32 v6, v6, v2
	v_sub_co_u32 v5, vcc_lo, v6, v2
	v_sub_co_ci_u32_e64 v6, null, v8, v2, vcc_lo
	global_store_dwordx2 v[3:4], v[5:6], off
.LBB19_2147:
	s_andn2_b32 vcc_lo, exec_lo, s2
	s_cbranch_vccnz .LBB19_2149
; %bb.2148:
	v_cvt_i32_f32_e32 v2, v1
	global_store_dword v[3:4], v2, off
.LBB19_2149:
	s_mov_b32 s2, 0
.LBB19_2150:
	s_andn2_b32 vcc_lo, exec_lo, s2
	s_cbranch_vccnz .LBB19_2152
; %bb.2151:
	v_cvt_i32_f32_e32 v2, v1
	global_store_short v[3:4], v2, off
.LBB19_2152:
	s_mov_b32 s2, 0
.LBB19_2153:
	s_andn2_b32 vcc_lo, exec_lo, s2
	s_cbranch_vccnz .LBB19_2158
; %bb.2154:
	s_cmp_gt_i32 s0, 0
	s_mov_b32 s0, -1
	s_cbranch_scc0 .LBB19_2156
; %bb.2155:
	v_cvt_i32_f32_e32 v2, v1
	s_mov_b32 s0, 0
	global_store_byte v[3:4], v2, off
.LBB19_2156:
	s_andn2_b32 vcc_lo, exec_lo, s0
	s_cbranch_vccnz .LBB19_2158
; %bb.2157:
	v_trunc_f32_e32 v1, v1
	v_mul_f32_e64 v2, 0x2f800000, |v1|
	v_floor_f32_e32 v2, v2
	v_fma_f32 v2, 0xcf800000, v2, |v1|
	v_ashrrev_i32_e32 v1, 31, v1
	v_cvt_u32_f32_e32 v2, v2
	v_xor_b32_e32 v2, v2, v1
	v_sub_nc_u32_e32 v1, v2, v1
	global_store_byte v[3:4], v1, off
.LBB19_2158:
	s_mov_b32 s4, -1
.LBB19_2159:
	s_andn2_b32 vcc_lo, exec_lo, s4
	s_cbranch_vccnz .LBB19_2236
; %bb.2160:
	v_add_co_u32 v0, s0, s8, v0
	v_add_co_ci_u32_e64 v1, null, s9, 0, s0
	s_cmp_lt_i32 s6, 11
	s_cbranch_scc1 .LBB19_2237
; %bb.2161:
	s_and_b32 s2, 0xffff, s6
	s_mov_b32 s4, -1
	s_mov_b32 s3, 0
	s_cmp_gt_i32 s2, 25
	s_mov_b32 s0, 0
	s_cbranch_scc0 .LBB19_2194
; %bb.2162:
	s_cmp_gt_i32 s2, 28
	s_cbranch_scc0 .LBB19_2178
; %bb.2163:
	s_cmp_gt_i32 s2, 43
	;; [unrolled: 3-line block ×3, first 2 shown]
	s_cbranch_scc0 .LBB19_2168
; %bb.2165:
	s_cmp_eq_u32 s2, 46
	s_mov_b32 s0, -1
	s_cbranch_scc0 .LBB19_2167
; %bb.2166:
	v_bfe_u32 v2, v7, 16, 1
	v_cmp_o_f32_e32 vcc_lo, v7, v7
	v_mov_b32_e32 v3, 0x7fc0
	s_mov_b32 s0, 0
	v_add3_u32 v2, v7, v2, 0x7fff
	v_cndmask_b32_sdwa v2, v3, v2, vcc_lo dst_sel:DWORD dst_unused:UNUSED_PAD src0_sel:DWORD src1_sel:WORD_1
	global_store_dword v[0:1], v2, off
.LBB19_2167:
	s_mov_b32 s4, 0
.LBB19_2168:
	s_and_b32 vcc_lo, exec_lo, s4
	s_cbranch_vccz .LBB19_2173
; %bb.2169:
	s_cmp_eq_u32 s2, 44
	s_mov_b32 s0, -1
	s_cbranch_scc0 .LBB19_2173
; %bb.2170:
	v_bfe_u32 v3, v7, 23, 8
	v_mov_b32_e32 v2, 0xff
	s_mov_b32 s4, exec_lo
	v_cmpx_ne_u32_e32 0xff, v3
	s_cbranch_execz .LBB19_2172
; %bb.2171:
	v_and_b32_e32 v2, 0x400000, v7
	v_and_or_b32 v3, 0x3fffff, v7, v3
	v_cmp_ne_u32_e32 vcc_lo, 0, v2
	v_cmp_ne_u32_e64 s0, 0, v3
	v_lshrrev_b32_e32 v2, 23, v7
	s_and_b32 s0, vcc_lo, s0
	v_cndmask_b32_e64 v3, 0, 1, s0
	v_add_nc_u32_e32 v2, v2, v3
.LBB19_2172:
	s_or_b32 exec_lo, exec_lo, s4
	s_mov_b32 s0, 0
	global_store_byte v[0:1], v2, off
.LBB19_2173:
	s_mov_b32 s4, 0
.LBB19_2174:
	s_and_b32 vcc_lo, exec_lo, s4
	s_cbranch_vccz .LBB19_2177
; %bb.2175:
	s_cmp_eq_u32 s2, 29
	s_mov_b32 s0, -1
	s_cbranch_scc0 .LBB19_2177
; %bb.2176:
	v_trunc_f32_e32 v2, v7
	s_mov_b32 s0, 0
	v_mul_f32_e32 v3, 0x2f800000, v2
	v_floor_f32_e32 v3, v3
	v_fmamk_f32 v2, v3, 0xcf800000, v2
	v_cvt_u32_f32_e32 v3, v3
	v_cvt_u32_f32_e32 v2, v2
	global_store_dwordx2 v[0:1], v[2:3], off
.LBB19_2177:
	s_mov_b32 s4, 0
.LBB19_2178:
	s_and_b32 vcc_lo, exec_lo, s4
	s_cbranch_vccz .LBB19_2193
; %bb.2179:
	s_cmp_lt_i32 s2, 27
	s_mov_b32 s4, -1
	s_cbranch_scc1 .LBB19_2185
; %bb.2180:
	s_cmp_gt_i32 s2, 27
	s_cbranch_scc0 .LBB19_2182
; %bb.2181:
	v_cvt_u32_f32_e32 v2, v7
	s_mov_b32 s4, 0
	global_store_dword v[0:1], v2, off
.LBB19_2182:
	s_andn2_b32 vcc_lo, exec_lo, s4
	s_cbranch_vccnz .LBB19_2184
; %bb.2183:
	v_cvt_u32_f32_e32 v2, v7
	global_store_short v[0:1], v2, off
.LBB19_2184:
	s_mov_b32 s4, 0
.LBB19_2185:
	s_andn2_b32 vcc_lo, exec_lo, s4
	s_cbranch_vccnz .LBB19_2193
; %bb.2186:
	v_and_b32_e32 v2, 0x7fffffff, v7
	v_mov_b32_e32 v3, 0x80
	s_mov_b32 s4, exec_lo
	v_cmpx_gt_u32_e32 0x43800000, v2
	s_cbranch_execz .LBB19_2192
; %bb.2187:
	v_cmp_lt_u32_e32 vcc_lo, 0x3bffffff, v2
	s_mov_b32 s5, 0
                                        ; implicit-def: $vgpr2
	s_and_saveexec_b32 s7, vcc_lo
	s_xor_b32 s7, exec_lo, s7
	s_cbranch_execz .LBB19_2254
; %bb.2188:
	v_bfe_u32 v2, v7, 20, 1
	s_mov_b32 s5, exec_lo
	v_add3_u32 v2, v7, v2, 0x487ffff
	v_lshrrev_b32_e32 v2, 20, v2
	s_andn2_saveexec_b32 s7, s7
	s_cbranch_execnz .LBB19_2255
.LBB19_2189:
	s_or_b32 exec_lo, exec_lo, s7
	v_mov_b32_e32 v3, 0
	s_and_saveexec_b32 s7, s5
.LBB19_2190:
	v_lshrrev_b32_e32 v3, 24, v7
	v_and_or_b32 v3, 0x80, v3, v2
.LBB19_2191:
	s_or_b32 exec_lo, exec_lo, s7
.LBB19_2192:
	s_or_b32 exec_lo, exec_lo, s4
	global_store_byte v[0:1], v3, off
.LBB19_2193:
	s_mov_b32 s4, 0
.LBB19_2194:
	s_and_b32 vcc_lo, exec_lo, s4
	s_cbranch_vccz .LBB19_2234
; %bb.2195:
	s_cmp_gt_i32 s2, 22
	s_mov_b32 s3, -1
	s_cbranch_scc0 .LBB19_2227
; %bb.2196:
	s_cmp_lt_i32 s2, 24
	s_cbranch_scc1 .LBB19_2216
; %bb.2197:
	s_cmp_gt_i32 s2, 24
	s_cbranch_scc0 .LBB19_2205
; %bb.2198:
	v_and_b32_e32 v2, 0x7fffffff, v7
	v_mov_b32_e32 v3, 0x80
	s_mov_b32 s3, exec_lo
	v_cmpx_gt_u32_e32 0x47800000, v2
	s_cbranch_execz .LBB19_2204
; %bb.2199:
	v_cmp_lt_u32_e32 vcc_lo, 0x37ffffff, v2
	s_mov_b32 s4, 0
                                        ; implicit-def: $vgpr2
	s_and_saveexec_b32 s5, vcc_lo
	s_xor_b32 s5, exec_lo, s5
	s_cbranch_execz .LBB19_2257
; %bb.2200:
	v_bfe_u32 v2, v7, 21, 1
	s_mov_b32 s4, exec_lo
	v_add3_u32 v2, v7, v2, 0x88fffff
	v_lshrrev_b32_e32 v2, 21, v2
	s_andn2_saveexec_b32 s5, s5
	s_cbranch_execnz .LBB19_2258
.LBB19_2201:
	s_or_b32 exec_lo, exec_lo, s5
	v_mov_b32_e32 v3, 0
	s_and_saveexec_b32 s5, s4
.LBB19_2202:
	v_lshrrev_b32_e32 v3, 24, v7
	v_and_or_b32 v3, 0x80, v3, v2
.LBB19_2203:
	s_or_b32 exec_lo, exec_lo, s5
.LBB19_2204:
	s_or_b32 exec_lo, exec_lo, s3
	s_mov_b32 s3, 0
	global_store_byte v[0:1], v3, off
.LBB19_2205:
	s_and_b32 vcc_lo, exec_lo, s3
	s_cbranch_vccz .LBB19_2215
; %bb.2206:
	v_and_b32_e32 v3, 0x7fffffff, v7
	s_mov_b32 s3, exec_lo
                                        ; implicit-def: $vgpr2
	v_cmpx_gt_u32_e32 0x43f00000, v3
	s_xor_b32 s3, exec_lo, s3
	s_cbranch_execz .LBB19_2212
; %bb.2207:
	s_mov_b32 s4, exec_lo
                                        ; implicit-def: $vgpr2
	v_cmpx_lt_u32_e32 0x3c7fffff, v3
	s_xor_b32 s4, exec_lo, s4
; %bb.2208:
	v_bfe_u32 v2, v7, 20, 1
	v_add3_u32 v2, v7, v2, 0x407ffff
	v_and_b32_e32 v3, 0xff00000, v2
	v_lshrrev_b32_e32 v2, 20, v2
	v_cmp_ne_u32_e32 vcc_lo, 0x7f00000, v3
	v_cndmask_b32_e32 v2, 0x7e, v2, vcc_lo
; %bb.2209:
	s_andn2_saveexec_b32 s4, s4
; %bb.2210:
	v_add_f32_e64 v2, 0x46800000, |v7|
; %bb.2211:
	s_or_b32 exec_lo, exec_lo, s4
                                        ; implicit-def: $vgpr3
.LBB19_2212:
	s_andn2_saveexec_b32 s3, s3
; %bb.2213:
	v_mov_b32_e32 v2, 0x7f
	v_cmp_lt_u32_e32 vcc_lo, 0x7f800000, v3
	v_cndmask_b32_e32 v2, 0x7e, v2, vcc_lo
; %bb.2214:
	s_or_b32 exec_lo, exec_lo, s3
	v_lshrrev_b32_e32 v3, 24, v7
	v_and_or_b32 v2, 0x80, v3, v2
	global_store_byte v[0:1], v2, off
.LBB19_2215:
	s_mov_b32 s3, 0
.LBB19_2216:
	s_andn2_b32 vcc_lo, exec_lo, s3
	s_cbranch_vccnz .LBB19_2226
; %bb.2217:
	v_and_b32_e32 v3, 0x7fffffff, v7
	s_mov_b32 s3, exec_lo
                                        ; implicit-def: $vgpr2
	v_cmpx_gt_u32_e32 0x47800000, v3
	s_xor_b32 s3, exec_lo, s3
	s_cbranch_execz .LBB19_2223
; %bb.2218:
	s_mov_b32 s4, exec_lo
                                        ; implicit-def: $vgpr2
	v_cmpx_lt_u32_e32 0x387fffff, v3
	s_xor_b32 s4, exec_lo, s4
; %bb.2219:
	v_bfe_u32 v2, v7, 21, 1
	v_add3_u32 v2, v7, v2, 0x80fffff
	v_lshrrev_b32_e32 v2, 21, v2
; %bb.2220:
	s_andn2_saveexec_b32 s4, s4
; %bb.2221:
	v_add_f32_e64 v2, 0x43000000, |v7|
; %bb.2222:
	s_or_b32 exec_lo, exec_lo, s4
                                        ; implicit-def: $vgpr3
.LBB19_2223:
	s_andn2_saveexec_b32 s3, s3
; %bb.2224:
	v_mov_b32_e32 v2, 0x7f
	v_cmp_lt_u32_e32 vcc_lo, 0x7f800000, v3
	v_cndmask_b32_e32 v2, 0x7c, v2, vcc_lo
; %bb.2225:
	s_or_b32 exec_lo, exec_lo, s3
	v_lshrrev_b32_e32 v3, 24, v7
	v_and_or_b32 v2, 0x80, v3, v2
	global_store_byte v[0:1], v2, off
.LBB19_2226:
	s_mov_b32 s3, 0
.LBB19_2227:
	s_andn2_b32 vcc_lo, exec_lo, s3
	s_mov_b32 s3, 0
	s_cbranch_vccnz .LBB19_2234
; %bb.2228:
	s_cmp_gt_i32 s2, 14
	s_mov_b32 s3, -1
	s_cbranch_scc0 .LBB19_2232
; %bb.2229:
	s_cmp_eq_u32 s2, 15
	s_mov_b32 s0, -1
	s_cbranch_scc0 .LBB19_2231
; %bb.2230:
	v_bfe_u32 v2, v7, 16, 1
	v_cmp_o_f32_e32 vcc_lo, v7, v7
	v_mov_b32_e32 v3, 0x7fc0
	s_mov_b32 s0, 0
	v_add3_u32 v2, v7, v2, 0x7fff
	v_cndmask_b32_sdwa v2, v3, v2, vcc_lo dst_sel:DWORD dst_unused:UNUSED_PAD src0_sel:DWORD src1_sel:WORD_1
	global_store_short v[0:1], v2, off
.LBB19_2231:
	s_mov_b32 s3, 0
.LBB19_2232:
	s_and_b32 vcc_lo, exec_lo, s3
	s_mov_b32 s3, 0
	s_cbranch_vccz .LBB19_2234
; %bb.2233:
	s_cmp_lg_u32 s2, 11
	s_mov_b32 s3, -1
	s_cselect_b32 s0, -1, 0
.LBB19_2234:
	s_and_b32 vcc_lo, exec_lo, s0
	s_cbranch_vccnz .LBB19_2256
.LBB19_2235:
	s_mov_b32 s0, 0
	s_branch .LBB19_1837
.LBB19_2236:
	s_mov_b32 s0, 0
	s_mov_b32 s3, 0
                                        ; implicit-def: $vgpr0_vgpr1
                                        ; implicit-def: $sgpr6
	s_branch .LBB19_1837
.LBB19_2237:
	s_mov_b32 s3, 0
	s_mov_b32 s0, -1
	s_branch .LBB19_1837
.LBB19_2238:
	s_or_b32 s1, s1, exec_lo
	s_trap 2
	s_cbranch_execz .LBB19_1694
	s_branch .LBB19_1695
.LBB19_2239:
	s_andn2_saveexec_b32 s10, s10
	s_cbranch_execz .LBB19_1786
.LBB19_2240:
	v_add_f32_e64 v6, 0x46000000, |v5|
	s_andn2_b32 s7, s7, exec_lo
	v_and_b32_e32 v6, 0xff, v6
	v_cmp_ne_u32_e32 vcc_lo, 0, v6
	s_and_b32 s11, vcc_lo, exec_lo
	s_or_b32 s7, s7, s11
	s_or_b32 exec_lo, exec_lo, s10
	v_mov_b32_e32 v10, 0
	s_and_saveexec_b32 s10, s7
	s_cbranch_execnz .LBB19_1787
	s_branch .LBB19_1788
.LBB19_2241:
	s_or_b32 s1, s1, exec_lo
	s_trap 2
	s_cbranch_execz .LBB19_1834
	s_branch .LBB19_1835
.LBB19_2242:
	s_andn2_saveexec_b32 s7, s7
	s_cbranch_execz .LBB19_1799
.LBB19_2243:
	v_add_f32_e64 v6, 0x42800000, |v5|
	s_andn2_b32 s6, s6, exec_lo
	v_and_b32_e32 v6, 0xff, v6
	v_cmp_ne_u32_e32 vcc_lo, 0, v6
	s_and_b32 s10, vcc_lo, exec_lo
	s_or_b32 s6, s6, s10
	s_or_b32 exec_lo, exec_lo, s7
	v_mov_b32_e32 v10, 0
	s_and_saveexec_b32 s7, s6
	s_cbranch_execnz .LBB19_1800
	s_branch .LBB19_1801
.LBB19_2244:
	s_andn2_saveexec_b32 s7, s7
	s_cbranch_execz .LBB19_1950
.LBB19_2245:
	v_add_f32_e64 v4, 0x46000000, |v3|
	s_andn2_b32 s5, s5, exec_lo
	v_and_b32_e32 v4, 0xff, v4
	v_cmp_ne_u32_e32 vcc_lo, 0, v4
	s_and_b32 s10, vcc_lo, exec_lo
	s_or_b32 s5, s5, s10
	s_or_b32 exec_lo, exec_lo, s7
	v_mov_b32_e32 v8, 0
	s_and_saveexec_b32 s7, s5
	s_cbranch_execnz .LBB19_1951
	s_branch .LBB19_1952
.LBB19_2246:
	s_or_b32 s1, s1, exec_lo
	s_trap 2
	s_cbranch_execz .LBB19_1998
	s_branch .LBB19_1999
.LBB19_2247:
	s_andn2_saveexec_b32 s5, s5
	s_cbranch_execz .LBB19_1963
.LBB19_2248:
	v_add_f32_e64 v4, 0x42800000, |v3|
	s_andn2_b32 s4, s4, exec_lo
	v_and_b32_e32 v4, 0xff, v4
	v_cmp_ne_u32_e32 vcc_lo, 0, v4
	s_and_b32 s7, vcc_lo, exec_lo
	s_or_b32 s4, s4, s7
	s_or_b32 exec_lo, exec_lo, s5
	v_mov_b32_e32 v8, 0
	s_and_saveexec_b32 s5, s4
	s_cbranch_execnz .LBB19_1964
	s_branch .LBB19_1965
.LBB19_2249:
	s_andn2_saveexec_b32 s7, s7
	s_cbranch_execz .LBB19_2069
.LBB19_2250:
	v_add_f32_e64 v2, 0x46000000, |v1|
	s_andn2_b32 s5, s5, exec_lo
	v_and_b32_e32 v2, 0xff, v2
	v_cmp_ne_u32_e32 vcc_lo, 0, v2
	s_and_b32 s10, vcc_lo, exec_lo
	s_or_b32 s5, s5, s10
	s_or_b32 exec_lo, exec_lo, s7
	v_mov_b32_e32 v5, 0
	s_and_saveexec_b32 s7, s5
	s_cbranch_execnz .LBB19_2070
	s_branch .LBB19_2071
.LBB19_2251:
	s_or_b32 s1, s1, exec_lo
	s_trap 2
	s_cbranch_execz .LBB19_2117
	s_branch .LBB19_2118
.LBB19_2252:
	s_andn2_saveexec_b32 s5, s5
	s_cbranch_execz .LBB19_2082
.LBB19_2253:
	v_add_f32_e64 v2, 0x42800000, |v1|
	s_andn2_b32 s4, s4, exec_lo
	v_and_b32_e32 v2, 0xff, v2
	v_cmp_ne_u32_e32 vcc_lo, 0, v2
	s_and_b32 s7, vcc_lo, exec_lo
	s_or_b32 s4, s4, s7
	s_or_b32 exec_lo, exec_lo, s5
	v_mov_b32_e32 v5, 0
	s_and_saveexec_b32 s5, s4
	s_cbranch_execnz .LBB19_2083
	s_branch .LBB19_2084
.LBB19_2254:
	s_andn2_saveexec_b32 s7, s7
	s_cbranch_execz .LBB19_2189
.LBB19_2255:
	v_add_f32_e64 v2, 0x46000000, |v7|
	s_andn2_b32 s5, s5, exec_lo
	v_and_b32_e32 v2, 0xff, v2
	v_cmp_ne_u32_e32 vcc_lo, 0, v2
	s_and_b32 s8, vcc_lo, exec_lo
	s_or_b32 s5, s5, s8
	s_or_b32 exec_lo, exec_lo, s7
	v_mov_b32_e32 v3, 0
	s_and_saveexec_b32 s7, s5
	s_cbranch_execnz .LBB19_2190
	s_branch .LBB19_2191
.LBB19_2256:
	s_mov_b32 s3, 0
	s_or_b32 s1, s1, exec_lo
	s_trap 2
	s_branch .LBB19_2235
.LBB19_2257:
	s_andn2_saveexec_b32 s5, s5
	s_cbranch_execz .LBB19_2201
.LBB19_2258:
	v_add_f32_e64 v2, 0x42800000, |v7|
	s_andn2_b32 s4, s4, exec_lo
	v_and_b32_e32 v2, 0xff, v2
	v_cmp_ne_u32_e32 vcc_lo, 0, v2
	s_and_b32 s7, vcc_lo, exec_lo
	s_or_b32 s4, s4, s7
	s_or_b32 exec_lo, exec_lo, s5
	v_mov_b32_e32 v3, 0
	s_and_saveexec_b32 s5, s4
	s_cbranch_execnz .LBB19_2202
	s_branch .LBB19_2203
	.section	.rodata,"a",@progbits
	.p2align	6, 0x0
	.amdhsa_kernel _ZN2at6native32elementwise_kernel_manual_unrollILi128ELi4EZNS0_15gpu_kernel_implIZZZNS0_12_GLOBAL__N_130modified_bessel_i1_kernel_cudaERNS_18TensorIteratorBaseEENKUlvE_clEvENKUlvE0_clEvEUlfE_EEvS5_RKT_EUlibE0_EEviT1_
		.amdhsa_group_segment_fixed_size 0
		.amdhsa_private_segment_fixed_size 0
		.amdhsa_kernarg_size 360
		.amdhsa_user_sgpr_count 6
		.amdhsa_user_sgpr_private_segment_buffer 1
		.amdhsa_user_sgpr_dispatch_ptr 0
		.amdhsa_user_sgpr_queue_ptr 0
		.amdhsa_user_sgpr_kernarg_segment_ptr 1
		.amdhsa_user_sgpr_dispatch_id 0
		.amdhsa_user_sgpr_flat_scratch_init 0
		.amdhsa_user_sgpr_private_segment_size 0
		.amdhsa_wavefront_size32 1
		.amdhsa_uses_dynamic_stack 0
		.amdhsa_system_sgpr_private_segment_wavefront_offset 0
		.amdhsa_system_sgpr_workgroup_id_x 1
		.amdhsa_system_sgpr_workgroup_id_y 0
		.amdhsa_system_sgpr_workgroup_id_z 0
		.amdhsa_system_sgpr_workgroup_info 0
		.amdhsa_system_vgpr_workitem_id 0
		.amdhsa_next_free_vgpr 18
		.amdhsa_next_free_sgpr 68
		.amdhsa_reserve_vcc 1
		.amdhsa_reserve_flat_scratch 0
		.amdhsa_float_round_mode_32 0
		.amdhsa_float_round_mode_16_64 0
		.amdhsa_float_denorm_mode_32 3
		.amdhsa_float_denorm_mode_16_64 3
		.amdhsa_dx10_clamp 1
		.amdhsa_ieee_mode 1
		.amdhsa_fp16_overflow 0
		.amdhsa_workgroup_processor_mode 1
		.amdhsa_memory_ordered 1
		.amdhsa_forward_progress 1
		.amdhsa_shared_vgpr_count 0
		.amdhsa_exception_fp_ieee_invalid_op 0
		.amdhsa_exception_fp_denorm_src 0
		.amdhsa_exception_fp_ieee_div_zero 0
		.amdhsa_exception_fp_ieee_overflow 0
		.amdhsa_exception_fp_ieee_underflow 0
		.amdhsa_exception_fp_ieee_inexact 0
		.amdhsa_exception_int_div_zero 0
	.end_amdhsa_kernel
	.section	.text._ZN2at6native32elementwise_kernel_manual_unrollILi128ELi4EZNS0_15gpu_kernel_implIZZZNS0_12_GLOBAL__N_130modified_bessel_i1_kernel_cudaERNS_18TensorIteratorBaseEENKUlvE_clEvENKUlvE0_clEvEUlfE_EEvS5_RKT_EUlibE0_EEviT1_,"axG",@progbits,_ZN2at6native32elementwise_kernel_manual_unrollILi128ELi4EZNS0_15gpu_kernel_implIZZZNS0_12_GLOBAL__N_130modified_bessel_i1_kernel_cudaERNS_18TensorIteratorBaseEENKUlvE_clEvENKUlvE0_clEvEUlfE_EEvS5_RKT_EUlibE0_EEviT1_,comdat
.Lfunc_end19:
	.size	_ZN2at6native32elementwise_kernel_manual_unrollILi128ELi4EZNS0_15gpu_kernel_implIZZZNS0_12_GLOBAL__N_130modified_bessel_i1_kernel_cudaERNS_18TensorIteratorBaseEENKUlvE_clEvENKUlvE0_clEvEUlfE_EEvS5_RKT_EUlibE0_EEviT1_, .Lfunc_end19-_ZN2at6native32elementwise_kernel_manual_unrollILi128ELi4EZNS0_15gpu_kernel_implIZZZNS0_12_GLOBAL__N_130modified_bessel_i1_kernel_cudaERNS_18TensorIteratorBaseEENKUlvE_clEvENKUlvE0_clEvEUlfE_EEvS5_RKT_EUlibE0_EEviT1_
                                        ; -- End function
	.set _ZN2at6native32elementwise_kernel_manual_unrollILi128ELi4EZNS0_15gpu_kernel_implIZZZNS0_12_GLOBAL__N_130modified_bessel_i1_kernel_cudaERNS_18TensorIteratorBaseEENKUlvE_clEvENKUlvE0_clEvEUlfE_EEvS5_RKT_EUlibE0_EEviT1_.num_vgpr, 18
	.set _ZN2at6native32elementwise_kernel_manual_unrollILi128ELi4EZNS0_15gpu_kernel_implIZZZNS0_12_GLOBAL__N_130modified_bessel_i1_kernel_cudaERNS_18TensorIteratorBaseEENKUlvE_clEvENKUlvE0_clEvEUlfE_EEvS5_RKT_EUlibE0_EEviT1_.num_agpr, 0
	.set _ZN2at6native32elementwise_kernel_manual_unrollILi128ELi4EZNS0_15gpu_kernel_implIZZZNS0_12_GLOBAL__N_130modified_bessel_i1_kernel_cudaERNS_18TensorIteratorBaseEENKUlvE_clEvENKUlvE0_clEvEUlfE_EEvS5_RKT_EUlibE0_EEviT1_.numbered_sgpr, 68
	.set _ZN2at6native32elementwise_kernel_manual_unrollILi128ELi4EZNS0_15gpu_kernel_implIZZZNS0_12_GLOBAL__N_130modified_bessel_i1_kernel_cudaERNS_18TensorIteratorBaseEENKUlvE_clEvENKUlvE0_clEvEUlfE_EEvS5_RKT_EUlibE0_EEviT1_.num_named_barrier, 0
	.set _ZN2at6native32elementwise_kernel_manual_unrollILi128ELi4EZNS0_15gpu_kernel_implIZZZNS0_12_GLOBAL__N_130modified_bessel_i1_kernel_cudaERNS_18TensorIteratorBaseEENKUlvE_clEvENKUlvE0_clEvEUlfE_EEvS5_RKT_EUlibE0_EEviT1_.private_seg_size, 0
	.set _ZN2at6native32elementwise_kernel_manual_unrollILi128ELi4EZNS0_15gpu_kernel_implIZZZNS0_12_GLOBAL__N_130modified_bessel_i1_kernel_cudaERNS_18TensorIteratorBaseEENKUlvE_clEvENKUlvE0_clEvEUlfE_EEvS5_RKT_EUlibE0_EEviT1_.uses_vcc, 1
	.set _ZN2at6native32elementwise_kernel_manual_unrollILi128ELi4EZNS0_15gpu_kernel_implIZZZNS0_12_GLOBAL__N_130modified_bessel_i1_kernel_cudaERNS_18TensorIteratorBaseEENKUlvE_clEvENKUlvE0_clEvEUlfE_EEvS5_RKT_EUlibE0_EEviT1_.uses_flat_scratch, 0
	.set _ZN2at6native32elementwise_kernel_manual_unrollILi128ELi4EZNS0_15gpu_kernel_implIZZZNS0_12_GLOBAL__N_130modified_bessel_i1_kernel_cudaERNS_18TensorIteratorBaseEENKUlvE_clEvENKUlvE0_clEvEUlfE_EEvS5_RKT_EUlibE0_EEviT1_.has_dyn_sized_stack, 0
	.set _ZN2at6native32elementwise_kernel_manual_unrollILi128ELi4EZNS0_15gpu_kernel_implIZZZNS0_12_GLOBAL__N_130modified_bessel_i1_kernel_cudaERNS_18TensorIteratorBaseEENKUlvE_clEvENKUlvE0_clEvEUlfE_EEvS5_RKT_EUlibE0_EEviT1_.has_recursion, 0
	.set _ZN2at6native32elementwise_kernel_manual_unrollILi128ELi4EZNS0_15gpu_kernel_implIZZZNS0_12_GLOBAL__N_130modified_bessel_i1_kernel_cudaERNS_18TensorIteratorBaseEENKUlvE_clEvENKUlvE0_clEvEUlfE_EEvS5_RKT_EUlibE0_EEviT1_.has_indirect_call, 0
	.section	.AMDGPU.csdata,"",@progbits
; Kernel info:
; codeLenInByte = 50448
; TotalNumSgprs: 70
; NumVgprs: 18
; ScratchSize: 0
; MemoryBound: 1
; FloatMode: 240
; IeeeMode: 1
; LDSByteSize: 0 bytes/workgroup (compile time only)
; SGPRBlocks: 0
; VGPRBlocks: 2
; NumSGPRsForWavesPerEU: 70
; NumVGPRsForWavesPerEU: 18
; Occupancy: 16
; WaveLimiterHint : 1
; COMPUTE_PGM_RSRC2:SCRATCH_EN: 0
; COMPUTE_PGM_RSRC2:USER_SGPR: 6
; COMPUTE_PGM_RSRC2:TRAP_HANDLER: 0
; COMPUTE_PGM_RSRC2:TGID_X_EN: 1
; COMPUTE_PGM_RSRC2:TGID_Y_EN: 0
; COMPUTE_PGM_RSRC2:TGID_Z_EN: 0
; COMPUTE_PGM_RSRC2:TIDIG_COMP_CNT: 0
	.text
	.p2alignl 6, 3214868480
	.fill 48, 4, 3214868480
	.section	.AMDGPU.gpr_maximums,"",@progbits
	.set amdgpu.max_num_vgpr, 32
	.set amdgpu.max_num_agpr, 0
	.set amdgpu.max_num_sgpr, 32
	.text
	.type	__hip_cuid_a3ba1b27d35c3d99,@object ; @__hip_cuid_a3ba1b27d35c3d99
	.section	.bss,"aw",@nobits
	.globl	__hip_cuid_a3ba1b27d35c3d99
__hip_cuid_a3ba1b27d35c3d99:
	.byte	0                               ; 0x0
	.size	__hip_cuid_a3ba1b27d35c3d99, 1

	.ident	"AMD clang version 22.0.0git (https://github.com/RadeonOpenCompute/llvm-project roc-7.2.4 26084 f58b06dce1f9c15707c5f808fd002e18c2accf7e)"
	.section	".note.GNU-stack","",@progbits
	.addrsig
	.addrsig_sym __hip_cuid_a3ba1b27d35c3d99
	.amdgpu_metadata
---
amdhsa.kernels:
  - .args:
      - .offset:         0
        .size:           4
        .value_kind:     by_value
      - .offset:         4
        .size:           1
        .value_kind:     by_value
      - .offset:         8
        .size:           16
        .value_kind:     by_value
    .group_segment_fixed_size: 0
    .kernarg_segment_align: 8
    .kernarg_segment_size: 24
    .language:       OpenCL C
    .language_version:
      - 2
      - 0
    .max_flat_workgroup_size: 256
    .name:           _ZN2at6native29vectorized_elementwise_kernelILi16EZZZNS0_12_GLOBAL__N_130modified_bessel_i1_kernel_cudaERNS_18TensorIteratorBaseEENKUlvE_clEvENKUlvE_clEvEUldE_St5arrayIPcLm2EEEEviT0_T1_
    .private_segment_fixed_size: 0
    .sgpr_count:     35
    .sgpr_spill_count: 0
    .symbol:         _ZN2at6native29vectorized_elementwise_kernelILi16EZZZNS0_12_GLOBAL__N_130modified_bessel_i1_kernel_cudaERNS_18TensorIteratorBaseEENKUlvE_clEvENKUlvE_clEvEUldE_St5arrayIPcLm2EEEEviT0_T1_.kd
    .uniform_work_group_size: 1
    .uses_dynamic_stack: false
    .vgpr_count:     32
    .vgpr_spill_count: 0
    .wavefront_size: 32
    .workgroup_processor_mode: 1
  - .args:
      - .offset:         0
        .size:           4
        .value_kind:     by_value
      - .offset:         4
        .size:           1
        .value_kind:     by_value
      - .offset:         8
        .size:           16
        .value_kind:     by_value
    .group_segment_fixed_size: 0
    .kernarg_segment_align: 8
    .kernarg_segment_size: 24
    .language:       OpenCL C
    .language_version:
      - 2
      - 0
    .max_flat_workgroup_size: 256
    .name:           _ZN2at6native29vectorized_elementwise_kernelILi8EZZZNS0_12_GLOBAL__N_130modified_bessel_i1_kernel_cudaERNS_18TensorIteratorBaseEENKUlvE_clEvENKUlvE_clEvEUldE_St5arrayIPcLm2EEEEviT0_T1_
    .private_segment_fixed_size: 0
    .sgpr_count:     35
    .sgpr_spill_count: 0
    .symbol:         _ZN2at6native29vectorized_elementwise_kernelILi8EZZZNS0_12_GLOBAL__N_130modified_bessel_i1_kernel_cudaERNS_18TensorIteratorBaseEENKUlvE_clEvENKUlvE_clEvEUldE_St5arrayIPcLm2EEEEviT0_T1_.kd
    .uniform_work_group_size: 1
    .uses_dynamic_stack: false
    .vgpr_count:     32
    .vgpr_spill_count: 0
    .wavefront_size: 32
    .workgroup_processor_mode: 1
  - .args:
      - .offset:         0
        .size:           4
        .value_kind:     by_value
      - .offset:         4
        .size:           1
        .value_kind:     by_value
      - .offset:         8
        .size:           16
        .value_kind:     by_value
    .group_segment_fixed_size: 0
    .kernarg_segment_align: 8
    .kernarg_segment_size: 24
    .language:       OpenCL C
    .language_version:
      - 2
      - 0
    .max_flat_workgroup_size: 256
    .name:           _ZN2at6native29vectorized_elementwise_kernelILi4EZZZNS0_12_GLOBAL__N_130modified_bessel_i1_kernel_cudaERNS_18TensorIteratorBaseEENKUlvE_clEvENKUlvE_clEvEUldE_St5arrayIPcLm2EEEEviT0_T1_
    .private_segment_fixed_size: 0
    .sgpr_count:     35
    .sgpr_spill_count: 0
    .symbol:         _ZN2at6native29vectorized_elementwise_kernelILi4EZZZNS0_12_GLOBAL__N_130modified_bessel_i1_kernel_cudaERNS_18TensorIteratorBaseEENKUlvE_clEvENKUlvE_clEvEUldE_St5arrayIPcLm2EEEEviT0_T1_.kd
    .uniform_work_group_size: 1
    .uses_dynamic_stack: false
    .vgpr_count:     32
    .vgpr_spill_count: 0
    .wavefront_size: 32
    .workgroup_processor_mode: 1
  - .args:
      - .offset:         0
        .size:           4
        .value_kind:     by_value
      - .offset:         4
        .size:           1
        .value_kind:     by_value
      - .offset:         8
        .size:           16
        .value_kind:     by_value
    .group_segment_fixed_size: 0
    .kernarg_segment_align: 8
    .kernarg_segment_size: 24
    .language:       OpenCL C
    .language_version:
      - 2
      - 0
    .max_flat_workgroup_size: 256
    .name:           _ZN2at6native29vectorized_elementwise_kernelILi2EZZZNS0_12_GLOBAL__N_130modified_bessel_i1_kernel_cudaERNS_18TensorIteratorBaseEENKUlvE_clEvENKUlvE_clEvEUldE_St5arrayIPcLm2EEEEviT0_T1_
    .private_segment_fixed_size: 0
    .sgpr_count:     35
    .sgpr_spill_count: 0
    .symbol:         _ZN2at6native29vectorized_elementwise_kernelILi2EZZZNS0_12_GLOBAL__N_130modified_bessel_i1_kernel_cudaERNS_18TensorIteratorBaseEENKUlvE_clEvENKUlvE_clEvEUldE_St5arrayIPcLm2EEEEviT0_T1_.kd
    .uniform_work_group_size: 1
    .uses_dynamic_stack: false
    .vgpr_count:     32
    .vgpr_spill_count: 0
    .wavefront_size: 32
    .workgroup_processor_mode: 1
  - .args:
      - .offset:         0
        .size:           4
        .value_kind:     by_value
      - .offset:         4
        .size:           1
        .value_kind:     by_value
      - .offset:         8
        .size:           16
        .value_kind:     by_value
      - .offset:         24
        .size:           1
        .value_kind:     by_value
      - .offset:         25
        .size:           1
        .value_kind:     by_value
      - .offset:         26
        .size:           1
        .value_kind:     by_value
      - .offset:         27
        .size:           1
        .value_kind:     by_value
    .group_segment_fixed_size: 0
    .kernarg_segment_align: 8
    .kernarg_segment_size: 28
    .language:       OpenCL C
    .language_version:
      - 2
      - 0
    .max_flat_workgroup_size: 256
    .name:           _ZN2at6native27unrolled_elementwise_kernelIZZZNS0_12_GLOBAL__N_130modified_bessel_i1_kernel_cudaERNS_18TensorIteratorBaseEENKUlvE_clEvENKUlvE_clEvEUldE_St5arrayIPcLm2EELi4E23TrivialOffsetCalculatorILi1EjESC_NS0_6memory15LoadWithoutCastENSD_16StoreWithoutCastEEEviT_T0_T2_T3_T4_T5_
    .private_segment_fixed_size: 0
    .sgpr_count:     35
    .sgpr_spill_count: 0
    .symbol:         _ZN2at6native27unrolled_elementwise_kernelIZZZNS0_12_GLOBAL__N_130modified_bessel_i1_kernel_cudaERNS_18TensorIteratorBaseEENKUlvE_clEvENKUlvE_clEvEUldE_St5arrayIPcLm2EELi4E23TrivialOffsetCalculatorILi1EjESC_NS0_6memory15LoadWithoutCastENSD_16StoreWithoutCastEEEviT_T0_T2_T3_T4_T5_.kd
    .uniform_work_group_size: 1
    .uses_dynamic_stack: false
    .vgpr_count:     32
    .vgpr_spill_count: 0
    .wavefront_size: 32
    .workgroup_processor_mode: 1
  - .args:
      - .offset:         0
        .size:           4
        .value_kind:     by_value
      - .offset:         8
        .size:           352
        .value_kind:     by_value
    .group_segment_fixed_size: 0
    .kernarg_segment_align: 8
    .kernarg_segment_size: 360
    .language:       OpenCL C
    .language_version:
      - 2
      - 0
    .max_flat_workgroup_size: 128
    .name:           _ZN2at6native32elementwise_kernel_manual_unrollILi128ELi4EZNS0_22gpu_kernel_impl_nocastIZZZNS0_12_GLOBAL__N_130modified_bessel_i1_kernel_cudaERNS_18TensorIteratorBaseEENKUlvE_clEvENKUlvE_clEvEUldE_EEvS5_RKT_EUlibE_EEviT1_
    .private_segment_fixed_size: 0
    .sgpr_count:     58
    .sgpr_spill_count: 0
    .symbol:         _ZN2at6native32elementwise_kernel_manual_unrollILi128ELi4EZNS0_22gpu_kernel_impl_nocastIZZZNS0_12_GLOBAL__N_130modified_bessel_i1_kernel_cudaERNS_18TensorIteratorBaseEENKUlvE_clEvENKUlvE_clEvEUldE_EEvS5_RKT_EUlibE_EEviT1_.kd
    .uniform_work_group_size: 1
    .uses_dynamic_stack: false
    .vgpr_count:     25
    .vgpr_spill_count: 0
    .wavefront_size: 32
    .workgroup_processor_mode: 1
  - .args:
      - .offset:         0
        .size:           4
        .value_kind:     by_value
      - .offset:         8
        .size:           32
        .value_kind:     by_value
    .group_segment_fixed_size: 0
    .kernarg_segment_align: 8
    .kernarg_segment_size: 40
    .language:       OpenCL C
    .language_version:
      - 2
      - 0
    .max_flat_workgroup_size: 128
    .name:           _ZN2at6native32elementwise_kernel_manual_unrollILi128ELi4EZNS0_15gpu_kernel_implIZZZNS0_12_GLOBAL__N_130modified_bessel_i1_kernel_cudaERNS_18TensorIteratorBaseEENKUlvE_clEvENKUlvE_clEvEUldE_EEvS5_RKT_EUlibE_EEviT1_
    .private_segment_fixed_size: 0
    .sgpr_count:     28
    .sgpr_spill_count: 0
    .symbol:         _ZN2at6native32elementwise_kernel_manual_unrollILi128ELi4EZNS0_15gpu_kernel_implIZZZNS0_12_GLOBAL__N_130modified_bessel_i1_kernel_cudaERNS_18TensorIteratorBaseEENKUlvE_clEvENKUlvE_clEvEUldE_EEvS5_RKT_EUlibE_EEviT1_.kd
    .uniform_work_group_size: 1
    .uses_dynamic_stack: false
    .vgpr_count:     21
    .vgpr_spill_count: 0
    .wavefront_size: 32
    .workgroup_processor_mode: 1
  - .args:
      - .offset:         0
        .size:           4
        .value_kind:     by_value
      - .offset:         8
        .size:           352
        .value_kind:     by_value
    .group_segment_fixed_size: 0
    .kernarg_segment_align: 8
    .kernarg_segment_size: 360
    .language:       OpenCL C
    .language_version:
      - 2
      - 0
    .max_flat_workgroup_size: 128
    .name:           _ZN2at6native32elementwise_kernel_manual_unrollILi128ELi4EZNS0_15gpu_kernel_implIZZZNS0_12_GLOBAL__N_130modified_bessel_i1_kernel_cudaERNS_18TensorIteratorBaseEENKUlvE_clEvENKUlvE_clEvEUldE_EEvS5_RKT_EUlibE0_EEviT1_
    .private_segment_fixed_size: 0
    .sgpr_count:     70
    .sgpr_spill_count: 0
    .symbol:         _ZN2at6native32elementwise_kernel_manual_unrollILi128ELi4EZNS0_15gpu_kernel_implIZZZNS0_12_GLOBAL__N_130modified_bessel_i1_kernel_cudaERNS_18TensorIteratorBaseEENKUlvE_clEvENKUlvE_clEvEUldE_EEvS5_RKT_EUlibE0_EEviT1_.kd
    .uniform_work_group_size: 1
    .uses_dynamic_stack: false
    .vgpr_count:     27
    .vgpr_spill_count: 0
    .wavefront_size: 32
    .workgroup_processor_mode: 1
  - .args:
      - .offset:         0
        .size:           4
        .value_kind:     by_value
      - .offset:         4
        .size:           1
        .value_kind:     by_value
      - .offset:         8
        .size:           16
        .value_kind:     by_value
    .group_segment_fixed_size: 0
    .kernarg_segment_align: 8
    .kernarg_segment_size: 24
    .language:       OpenCL C
    .language_version:
      - 2
      - 0
    .max_flat_workgroup_size: 256
    .name:           _ZN2at6native29vectorized_elementwise_kernelILi16EZZZNS0_12_GLOBAL__N_130modified_bessel_i1_kernel_cudaERNS_18TensorIteratorBaseEENKUlvE_clEvENKUlvE0_clEvEUlfE_St5arrayIPcLm2EEEEviT0_T1_
    .private_segment_fixed_size: 0
    .sgpr_count:     35
    .sgpr_spill_count: 0
    .symbol:         _ZN2at6native29vectorized_elementwise_kernelILi16EZZZNS0_12_GLOBAL__N_130modified_bessel_i1_kernel_cudaERNS_18TensorIteratorBaseEENKUlvE_clEvENKUlvE0_clEvEUlfE_St5arrayIPcLm2EEEEviT0_T1_.kd
    .uniform_work_group_size: 1
    .uses_dynamic_stack: false
    .vgpr_count:     32
    .vgpr_spill_count: 0
    .wavefront_size: 32
    .workgroup_processor_mode: 1
  - .args:
      - .offset:         0
        .size:           4
        .value_kind:     by_value
      - .offset:         4
        .size:           1
        .value_kind:     by_value
      - .offset:         8
        .size:           16
        .value_kind:     by_value
    .group_segment_fixed_size: 0
    .kernarg_segment_align: 8
    .kernarg_segment_size: 24
    .language:       OpenCL C
    .language_version:
      - 2
      - 0
    .max_flat_workgroup_size: 256
    .name:           _ZN2at6native29vectorized_elementwise_kernelILi8EZZZNS0_12_GLOBAL__N_130modified_bessel_i1_kernel_cudaERNS_18TensorIteratorBaseEENKUlvE_clEvENKUlvE0_clEvEUlfE_St5arrayIPcLm2EEEEviT0_T1_
    .private_segment_fixed_size: 0
    .sgpr_count:     35
    .sgpr_spill_count: 0
    .symbol:         _ZN2at6native29vectorized_elementwise_kernelILi8EZZZNS0_12_GLOBAL__N_130modified_bessel_i1_kernel_cudaERNS_18TensorIteratorBaseEENKUlvE_clEvENKUlvE0_clEvEUlfE_St5arrayIPcLm2EEEEviT0_T1_.kd
    .uniform_work_group_size: 1
    .uses_dynamic_stack: false
    .vgpr_count:     32
    .vgpr_spill_count: 0
    .wavefront_size: 32
    .workgroup_processor_mode: 1
  - .args:
      - .offset:         0
        .size:           4
        .value_kind:     by_value
      - .offset:         4
        .size:           1
        .value_kind:     by_value
      - .offset:         8
        .size:           16
        .value_kind:     by_value
    .group_segment_fixed_size: 0
    .kernarg_segment_align: 8
    .kernarg_segment_size: 24
    .language:       OpenCL C
    .language_version:
      - 2
      - 0
    .max_flat_workgroup_size: 256
    .name:           _ZN2at6native29vectorized_elementwise_kernelILi4EZZZNS0_12_GLOBAL__N_130modified_bessel_i1_kernel_cudaERNS_18TensorIteratorBaseEENKUlvE_clEvENKUlvE0_clEvEUlfE_St5arrayIPcLm2EEEEviT0_T1_
    .private_segment_fixed_size: 0
    .sgpr_count:     35
    .sgpr_spill_count: 0
    .symbol:         _ZN2at6native29vectorized_elementwise_kernelILi4EZZZNS0_12_GLOBAL__N_130modified_bessel_i1_kernel_cudaERNS_18TensorIteratorBaseEENKUlvE_clEvENKUlvE0_clEvEUlfE_St5arrayIPcLm2EEEEviT0_T1_.kd
    .uniform_work_group_size: 1
    .uses_dynamic_stack: false
    .vgpr_count:     32
    .vgpr_spill_count: 0
    .wavefront_size: 32
    .workgroup_processor_mode: 1
  - .args:
      - .offset:         0
        .size:           4
        .value_kind:     by_value
      - .offset:         4
        .size:           1
        .value_kind:     by_value
      - .offset:         8
        .size:           16
        .value_kind:     by_value
    .group_segment_fixed_size: 0
    .kernarg_segment_align: 8
    .kernarg_segment_size: 24
    .language:       OpenCL C
    .language_version:
      - 2
      - 0
    .max_flat_workgroup_size: 256
    .name:           _ZN2at6native29vectorized_elementwise_kernelILi2EZZZNS0_12_GLOBAL__N_130modified_bessel_i1_kernel_cudaERNS_18TensorIteratorBaseEENKUlvE_clEvENKUlvE0_clEvEUlfE_St5arrayIPcLm2EEEEviT0_T1_
    .private_segment_fixed_size: 0
    .sgpr_count:     35
    .sgpr_spill_count: 0
    .symbol:         _ZN2at6native29vectorized_elementwise_kernelILi2EZZZNS0_12_GLOBAL__N_130modified_bessel_i1_kernel_cudaERNS_18TensorIteratorBaseEENKUlvE_clEvENKUlvE0_clEvEUlfE_St5arrayIPcLm2EEEEviT0_T1_.kd
    .uniform_work_group_size: 1
    .uses_dynamic_stack: false
    .vgpr_count:     32
    .vgpr_spill_count: 0
    .wavefront_size: 32
    .workgroup_processor_mode: 1
  - .args:
      - .offset:         0
        .size:           4
        .value_kind:     by_value
      - .offset:         4
        .size:           1
        .value_kind:     by_value
      - .offset:         8
        .size:           16
        .value_kind:     by_value
      - .offset:         24
        .size:           1
        .value_kind:     by_value
      - .offset:         25
        .size:           1
        .value_kind:     by_value
      - .offset:         26
        .size:           1
        .value_kind:     by_value
      - .offset:         27
        .size:           1
        .value_kind:     by_value
    .group_segment_fixed_size: 0
    .kernarg_segment_align: 8
    .kernarg_segment_size: 28
    .language:       OpenCL C
    .language_version:
      - 2
      - 0
    .max_flat_workgroup_size: 256
    .name:           _ZN2at6native27unrolled_elementwise_kernelIZZZNS0_12_GLOBAL__N_130modified_bessel_i1_kernel_cudaERNS_18TensorIteratorBaseEENKUlvE_clEvENKUlvE0_clEvEUlfE_St5arrayIPcLm2EELi4E23TrivialOffsetCalculatorILi1EjESC_NS0_6memory15LoadWithoutCastENSD_16StoreWithoutCastEEEviT_T0_T2_T3_T4_T5_
    .private_segment_fixed_size: 0
    .sgpr_count:     35
    .sgpr_spill_count: 0
    .symbol:         _ZN2at6native27unrolled_elementwise_kernelIZZZNS0_12_GLOBAL__N_130modified_bessel_i1_kernel_cudaERNS_18TensorIteratorBaseEENKUlvE_clEvENKUlvE0_clEvEUlfE_St5arrayIPcLm2EELi4E23TrivialOffsetCalculatorILi1EjESC_NS0_6memory15LoadWithoutCastENSD_16StoreWithoutCastEEEviT_T0_T2_T3_T4_T5_.kd
    .uniform_work_group_size: 1
    .uses_dynamic_stack: false
    .vgpr_count:     32
    .vgpr_spill_count: 0
    .wavefront_size: 32
    .workgroup_processor_mode: 1
  - .args:
      - .offset:         0
        .size:           4
        .value_kind:     by_value
      - .offset:         8
        .size:           352
        .value_kind:     by_value
    .group_segment_fixed_size: 0
    .kernarg_segment_align: 8
    .kernarg_segment_size: 360
    .language:       OpenCL C
    .language_version:
      - 2
      - 0
    .max_flat_workgroup_size: 128
    .name:           _ZN2at6native32elementwise_kernel_manual_unrollILi128ELi4EZNS0_22gpu_kernel_impl_nocastIZZZNS0_12_GLOBAL__N_130modified_bessel_i1_kernel_cudaERNS_18TensorIteratorBaseEENKUlvE_clEvENKUlvE0_clEvEUlfE_EEvS5_RKT_EUlibE_EEviT1_
    .private_segment_fixed_size: 0
    .sgpr_count:     58
    .sgpr_spill_count: 0
    .symbol:         _ZN2at6native32elementwise_kernel_manual_unrollILi128ELi4EZNS0_22gpu_kernel_impl_nocastIZZZNS0_12_GLOBAL__N_130modified_bessel_i1_kernel_cudaERNS_18TensorIteratorBaseEENKUlvE_clEvENKUlvE0_clEvEUlfE_EEvS5_RKT_EUlibE_EEviT1_.kd
    .uniform_work_group_size: 1
    .uses_dynamic_stack: false
    .vgpr_count:     18
    .vgpr_spill_count: 0
    .wavefront_size: 32
    .workgroup_processor_mode: 1
  - .args:
      - .offset:         0
        .size:           4
        .value_kind:     by_value
      - .offset:         8
        .size:           32
        .value_kind:     by_value
    .group_segment_fixed_size: 0
    .kernarg_segment_align: 8
    .kernarg_segment_size: 40
    .language:       OpenCL C
    .language_version:
      - 2
      - 0
    .max_flat_workgroup_size: 128
    .name:           _ZN2at6native32elementwise_kernel_manual_unrollILi128ELi4EZNS0_15gpu_kernel_implIZZZNS0_12_GLOBAL__N_130modified_bessel_i1_kernel_cudaERNS_18TensorIteratorBaseEENKUlvE_clEvENKUlvE0_clEvEUlfE_EEvS5_RKT_EUlibE_EEviT1_
    .private_segment_fixed_size: 0
    .sgpr_count:     28
    .sgpr_spill_count: 0
    .symbol:         _ZN2at6native32elementwise_kernel_manual_unrollILi128ELi4EZNS0_15gpu_kernel_implIZZZNS0_12_GLOBAL__N_130modified_bessel_i1_kernel_cudaERNS_18TensorIteratorBaseEENKUlvE_clEvENKUlvE0_clEvEUlfE_EEvS5_RKT_EUlibE_EEviT1_.kd
    .uniform_work_group_size: 1
    .uses_dynamic_stack: false
    .vgpr_count:     13
    .vgpr_spill_count: 0
    .wavefront_size: 32
    .workgroup_processor_mode: 1
  - .args:
      - .offset:         0
        .size:           4
        .value_kind:     by_value
      - .offset:         8
        .size:           352
        .value_kind:     by_value
    .group_segment_fixed_size: 0
    .kernarg_segment_align: 8
    .kernarg_segment_size: 360
    .language:       OpenCL C
    .language_version:
      - 2
      - 0
    .max_flat_workgroup_size: 128
    .name:           _ZN2at6native32elementwise_kernel_manual_unrollILi128ELi4EZNS0_15gpu_kernel_implIZZZNS0_12_GLOBAL__N_130modified_bessel_i1_kernel_cudaERNS_18TensorIteratorBaseEENKUlvE_clEvENKUlvE0_clEvEUlfE_EEvS5_RKT_EUlibE0_EEviT1_
    .private_segment_fixed_size: 0
    .sgpr_count:     70
    .sgpr_spill_count: 0
    .symbol:         _ZN2at6native32elementwise_kernel_manual_unrollILi128ELi4EZNS0_15gpu_kernel_implIZZZNS0_12_GLOBAL__N_130modified_bessel_i1_kernel_cudaERNS_18TensorIteratorBaseEENKUlvE_clEvENKUlvE0_clEvEUlfE_EEvS5_RKT_EUlibE0_EEviT1_.kd
    .uniform_work_group_size: 1
    .uses_dynamic_stack: false
    .vgpr_count:     18
    .vgpr_spill_count: 0
    .wavefront_size: 32
    .workgroup_processor_mode: 1
amdhsa.target:   amdgcn-amd-amdhsa--gfx1030
amdhsa.version:
  - 1
  - 2
...

	.end_amdgpu_metadata
